;; amdgpu-corpus repo=ROCm/rocSOLVER kind=compiled arch=gfx1250 opt=O3
	.amdgcn_target "amdgcn-amd-amdhsa--gfx1250"
	.amdhsa_code_object_version 6
	.section	.text._ZN9rocsolver6v33100L22larf_left_kernel_smallILi64EfiPfEEvT1_S3_T2_lS3_lPKT0_lS4_lS3_l,"axG",@progbits,_ZN9rocsolver6v33100L22larf_left_kernel_smallILi64EfiPfEEvT1_S3_T2_lS3_lPKT0_lS4_lS3_l,comdat
	.globl	_ZN9rocsolver6v33100L22larf_left_kernel_smallILi64EfiPfEEvT1_S3_T2_lS3_lPKT0_lS4_lS3_l ; -- Begin function _ZN9rocsolver6v33100L22larf_left_kernel_smallILi64EfiPfEEvT1_S3_T2_lS3_lPKT0_lS4_lS3_l
	.p2align	8
	.type	_ZN9rocsolver6v33100L22larf_left_kernel_smallILi64EfiPfEEvT1_S3_T2_lS3_lPKT0_lS4_lS3_l,@function
_ZN9rocsolver6v33100L22larf_left_kernel_smallILi64EfiPfEEvT1_S3_T2_lS3_lPKT0_lS4_lS3_l: ; @_ZN9rocsolver6v33100L22larf_left_kernel_smallILi64EfiPfEEvT1_S3_T2_lS3_lPKT0_lS4_lS3_l
; %bb.0:
	s_clause 0x2
	s_load_b64 s[12:13], s[0:1], 0x0
	s_load_b256 s[4:11], s[0:1], 0x20
	s_load_b64 s[14:15], s[0:1], 0x40
	s_bfe_u32 s2, ttmp6, 0x4000c
	s_and_b32 s3, ttmp6, 15
	s_add_co_i32 s2, s2, 1
	s_getreg_b32 s18, hwreg(HW_REG_IB_STS2, 6, 4)
	s_mul_i32 s2, ttmp9, s2
	s_delay_alu instid0(SALU_CYCLE_1)
	s_add_co_i32 s3, s3, s2
	s_cmp_eq_u32 s18, 0
	s_cselect_b32 s16, ttmp9, s3
	s_mov_b32 s3, 0
	s_ashr_i32 s17, s16, 31
	s_wait_kmcnt 0x0
	v_cmp_gt_i32_e64 s2, s12, v0
	v_xad_u32 v4, v0, -1, s12
	s_and_saveexec_b32 s19, s2
	s_cbranch_execz .LBB0_17
; %bb.1:
	s_clause 0x1
	s_load_b128 s[24:27], s[0:1], 0x8
	s_load_b32 s20, s[0:1], 0x18
	s_mul_u64 s[4:5], s[4:5], s[16:17]
	s_sub_co_i32 s21, 1, s12
	s_lshl_b64 s[4:5], s[4:5], 2
                                        ; implicit-def: $vgpr1
                                        ; implicit-def: $vgpr2
	s_wait_kmcnt 0x0
	s_lshl_b64 s[22:23], s[26:27], 2
	s_add_nc_u64 s[4:5], s[24:25], s[4:5]
	s_mul_i32 s21, s20, s21
	s_cmp_lt_i32 s20, 1
	s_add_nc_u64 s[4:5], s[4:5], s[22:23]
	s_cselect_b32 s21, s21, 0
	s_mov_b32 s24, -1
	s_mov_b32 s22, exec_lo
	v_cmpx_lt_u32_e32 0x63f, v4
	s_xor_b32 s22, exec_lo, s22
	s_cbranch_execnz .LBB0_4
; %bb.2:
	s_and_not1_saveexec_b32 s22, s22
	s_cbranch_execnz .LBB0_14
.LBB0_3:
	s_or_b32 exec_lo, exec_lo, s22
	s_delay_alu instid0(SALU_CYCLE_1)
	s_and_b32 exec_lo, exec_lo, s3
	s_cbranch_execnz .LBB0_15
	s_branch .LBB0_17
.LBB0_4:
	s_lshl_b32 s23, s20, 6
	v_mad_u32 v1, v0, s20, s21
	s_sub_co_i32 s3, 0, s23
	s_cmp_lt_i32 s23, 0
	v_lshrrev_b32_e32 v5, 6, v4
	s_cselect_b32 vcc_lo, -1, 0
	s_delay_alu instid0(SALU_CYCLE_1)
	s_and_b32 s25, vcc_lo, exec_lo
	s_cselect_b32 s25, s3, s23
	s_delay_alu instid0(VALU_DEP_1) | instid1(SALU_CYCLE_1)
	v_mul_lo_u32 v2, s25, v5
	s_delay_alu instid0(VALU_DEP_1) | instskip(NEXT) | instid1(VALU_DEP_1)
	v_sub_nc_u32_e32 v3, v1, v2
	v_cmp_gt_i32_e64 s3, v3, v1
	s_delay_alu instid0(VALU_DEP_1) | instskip(SKIP_1) | instid1(VALU_DEP_1)
	v_cndmask_b32_e64 v3, 0, 1, s3
	v_add_nc_u32_e32 v2, v1, v2
	v_cmp_lt_i32_e64 s3, v2, v1
	v_mul_hi_u32 v2, s25, v5
	s_delay_alu instid0(VALU_DEP_2) | instskip(NEXT) | instid1(VALU_DEP_1)
	v_cndmask_b32_e64 v1, 0, 1, s3
	v_cndmask_b32_e32 v1, v1, v3, vcc_lo
	s_delay_alu instid0(VALU_DEP_3) | instskip(NEXT) | instid1(VALU_DEP_2)
	v_cmp_eq_u32_e64 s3, 0, v2
	v_and_b32_e32 v1, 1, v1
	s_delay_alu instid0(VALU_DEP_1) | instskip(SKIP_2) | instid1(SALU_CYCLE_1)
	v_cmp_eq_u32_e32 vcc_lo, 1, v1
	v_mov_b32_e32 v1, v0
	s_xor_b32 s25, vcc_lo, -1
	s_and_b32 s25, s25, s3
	s_delay_alu instid0(SALU_CYCLE_1)
	s_and_saveexec_b32 s3, s25
	s_cbranch_execz .LBB0_13
; %bb.5:
	v_dual_add_nc_u32 v2, -1, v5 :: v_dual_bitop2_b32 v1, 64, v0 bitop3:0x54
	s_delay_alu instid0(VALU_DEP_1) | instskip(SKIP_1) | instid1(VALU_DEP_2)
	v_dual_mov_b32 v9, 0 :: v_dual_lshrrev_b32 v3, 1, v2
	v_cmp_lt_u32_e32 vcc_lo, 5, v2
	v_add_nc_u32_e32 v6, 1, v3
	s_delay_alu instid0(VALU_DEP_4)
	v_mov_b64_e32 v[2:3], v[0:1]
	s_and_saveexec_b32 s24, vcc_lo
	s_cbranch_execz .LBB0_9
; %bb.6:
	v_mov_b64_e32 v[2:3], v[0:1]
	v_dual_lshlrev_b32 v8, 2, v0 :: v_dual_bitop2_b32 v7, -4, v6 bitop3:0x40
	s_mov_b32 s25, 0
	s_mov_b32 s26, 0
.LBB0_7:                                ; =>This Inner Loop Header: Depth=1
	s_delay_alu instid0(VALU_DEP_2)
	v_add_nc_u32_e32 v11, 0x180, v3
	v_add_nc_u32_e32 v12, 0x100, v3
	;; [unrolled: 1-line block ×3, first 2 shown]
	v_mad_u32 v9, v2, s20, s21
	s_add_co_i32 s26, s26, 8
	v_add_nc_u32_e32 v10, 0x80, v2
	v_add_nc_u32_e32 v14, 0x100, v2
	v_mad_u32 v11, v11, s20, s21
	v_add_nc_u32_e32 v15, 0x180, v2
	v_mad_u32 v12, v12, s20, s21
	v_mad_u32 v13, v13, s20, s21
	;; [unrolled: 1-line block ×6, first 2 shown]
	s_clause 0x7
	global_load_b32 v16, v9, s[4:5] scale_offset
	global_load_b32 v17, v11, s[4:5] scale_offset
	;; [unrolled: 1-line block ×8, first 2 shown]
	v_add_nc_u32_e32 v7, -4, v7
	v_add_nc_u32_e32 v3, 0x200, v3
	s_wait_xcnt 0x7
	v_dual_mov_b32 v9, s26 :: v_dual_add_nc_u32 v2, 0x200, v2
	s_wait_loadcnt 0x3
	ds_store_2addr_stride64_b32 v8, v16, v20 offset1:1
	s_wait_loadcnt 0x2
	ds_store_2addr_stride64_b32 v8, v21, v19 offset0:2 offset1:3
	s_wait_loadcnt 0x1
	ds_store_2addr_stride64_b32 v8, v22, v18 offset0:4 offset1:5
	;; [unrolled: 2-line block ×3, first 2 shown]
	v_cmp_eq_u32_e32 vcc_lo, 0, v7
	v_add_nc_u32_e32 v8, 0x800, v8
	s_or_b32 s25, vcc_lo, s25
	s_wait_xcnt 0x0
	s_and_not1_b32 exec_lo, exec_lo, s25
	s_cbranch_execnz .LBB0_7
; %bb.8:
	s_or_b32 exec_lo, exec_lo, s25
.LBB0_9:
	s_delay_alu instid0(SALU_CYCLE_1) | instskip(SKIP_3) | instid1(VALU_DEP_1)
	s_or_b32 exec_lo, exec_lo, s24
	v_and_b32_e32 v1, 3, v6
	s_mov_b32 s25, 0
	s_mov_b32 s24, exec_lo
	v_cmpx_ne_u32_e32 0, v1
	s_cbranch_execz .LBB0_12
; %bb.10:
	v_lshlrev_b32_e32 v6, 2, v0
	s_delay_alu instid0(VALU_DEP_1)
	v_lshl_or_b32 v6, v9, 8, v6
.LBB0_11:                               ; =>This Inner Loop Header: Depth=1
	v_mad_u32 v7, v2, s20, s21
	v_mad_u32 v8, v3, s20, s21
	v_add_nc_u32_e32 v1, -1, v1
	v_add_nc_u32_e32 v3, 0x80, v3
	v_add_nc_u32_e32 v2, 0x80, v2
	s_clause 0x1
	global_load_b32 v9, v7, s[4:5] scale_offset
	global_load_b32 v10, v8, s[4:5] scale_offset
	v_cmp_eq_u32_e32 vcc_lo, 0, v1
	s_or_b32 s25, vcc_lo, s25
	s_wait_loadcnt 0x0
	ds_store_2addr_stride64_b32 v6, v9, v10 offset1:1
	v_add_nc_u32_e32 v6, 0x200, v6
	s_and_not1_b32 exec_lo, exec_lo, s25
	s_cbranch_execnz .LBB0_11
.LBB0_12:
	s_or_b32 exec_lo, exec_lo, s24
	v_add_nc_u32_e32 v1, 1, v5
	s_delay_alu instid0(VALU_DEP_1) | instskip(NEXT) | instid1(VALU_DEP_1)
	v_and_b32_e32 v2, 0x7fffffe, v1
	v_cmp_ne_u32_e32 vcc_lo, v1, v2
	v_lshl_or_b32 v1, v2, 6, v0
	s_or_not1_b32 s24, vcc_lo, exec_lo
.LBB0_13:
	s_or_b32 exec_lo, exec_lo, s3
	v_mov_b32_e32 v2, s23
	s_and_b32 s3, s24, exec_lo
	s_and_not1_saveexec_b32 s22, s22
	s_cbranch_execz .LBB0_3
.LBB0_14:
	s_lshl_b32 s23, s20, 6
	s_or_b32 s3, s3, exec_lo
	v_dual_mov_b32 v2, s23 :: v_dual_mov_b32 v1, v0
	s_or_b32 exec_lo, exec_lo, s22
	s_delay_alu instid0(SALU_CYCLE_1)
	s_and_b32 exec_lo, exec_lo, s3
	s_cbranch_execz .LBB0_17
.LBB0_15:
	s_delay_alu instid0(VALU_DEP_1)
	v_mad_u32 v3, v1, s20, s21
	v_lshlrev_b32_e32 v5, 2, v1
	s_mov_b32 s3, 0
.LBB0_16:                               ; =>This Inner Loop Header: Depth=1
	global_load_b32 v6, v3, s[4:5] scale_offset
	s_wait_xcnt 0x0
	v_dual_add_nc_u32 v1, 64, v1 :: v_dual_add_nc_u32 v3, v3, v2
	s_delay_alu instid0(VALU_DEP_1)
	v_cmp_le_i32_e32 vcc_lo, s12, v1
	s_or_b32 s3, vcc_lo, s3
	s_wait_loadcnt 0x0
	ds_store_b32 v5, v6
	v_add_nc_u32_e32 v5, 0x100, v5
	s_and_not1_b32 exec_lo, exec_lo, s3
	s_cbranch_execnz .LBB0_16
.LBB0_17:
	s_or_b32 exec_lo, exec_lo, s19
	s_bfe_u32 s3, ttmp6, 0x40010
	s_bfe_u32 s4, ttmp6, 0x40004
	s_add_co_i32 s3, s3, 1
	s_wait_dscnt 0x0
	s_mul_i32 s3, ttmp7, s3
	s_barrier_signal -1
	s_add_co_i32 s4, s4, s3
	s_cmp_eq_u32 s18, 0
	s_barrier_wait -1
	s_cselect_b32 s24, ttmp7, s4
	s_delay_alu instid0(SALU_CYCLE_1)
	s_cmp_ge_i32 s24, s13
	s_cbranch_scc1 .LBB0_55
; %bb.18:
	v_lshrrev_b32_e32 v1, 6, v4
	s_clause 0x1
	s_load_b64 s[18:19], s[0:1], 0x50
	s_load_b32 s25, s[0:1], 0x48
	v_dual_lshrrev_b32 v14, 3, v0 :: v_dual_bitop2_b32 v2, 31, v0 bitop3:0x40
	s_mul_u64 s[4:5], s[8:9], s[16:17]
	v_add_nc_u32_e32 v6, 1, v1
	s_lshl_b64 s[4:5], s[4:5], 2
	s_lshl_b64 s[20:21], s[14:15], 2
	s_add_nc_u64 s[14:15], s[6:7], s[4:5]
	v_cmp_eq_u32_e64 s4, 0, v2
	v_dual_add_nc_u32 v5, -1, v1 :: v_dual_bitop2_b32 v8, 7, v6 bitop3:0x40
	s_wait_xcnt 0x0
	v_cmp_lt_u32_e64 s1, 0x1bf, v4
	v_cmp_lt_u32_e64 s3, 63, v4
	v_mbcnt_lo_u32_b32 v18, -1, 0
	v_dual_mov_b32 v3, 0 :: v_dual_lshrrev_b32 v1, 1, v5
	v_cmp_eq_u32_e64 s0, 0, v0
	v_cmp_ne_u32_e64 s5, 0, v8
	s_delay_alu instid0(VALU_DEP_4)
	v_lshl_or_b32 v19, v18, 2, 64
	s_wait_kmcnt 0x0
	s_mul_u64 s[6:7], s[18:19], s[16:17]
	v_add_nc_u32_e32 v2, 1, v1
	s_lshl_b64 s[18:19], s[6:7], 2
	v_dual_lshlrev_b32 v4, 2, v0 :: v_dual_bitop2_b32 v1, 64, v0 bitop3:0x54
	s_add_nc_u64 s[6:7], s[10:11], s[18:19]
	s_delay_alu instid0(VALU_DEP_2)
	v_and_b32_e32 v16, 3, v2
	v_and_b32_e32 v7, 0x7fffffe, v6
	s_add_nc_u64 s[16:17], s[6:7], s[20:21]
	v_cmp_lt_u32_e64 s6, 5, v5
	v_dual_mov_b32 v5, v3 :: v_dual_bitop2_b32 v17, -4, v2 bitop3:0x40
	s_add_nc_u64 s[18:19], s[18:19], s[20:21]
	v_lshl_or_b32 v15, v7, 6, v0
	s_add_nc_u64 s[10:11], s[10:11], s[18:19]
	v_cmp_ne_u32_e64 s8, v6, v7
	v_add_nc_u64_e32 v[6:7], s[10:11], v[4:5]
	v_cmp_ne_u32_e64 s7, 0, v16
	v_dual_lshlrev_b32 v5, 2, v8 :: v_dual_lshlrev_b32 v20, 2, v15
	s_cmp_gt_i32 s12, 1
	s_mul_i32 s18, s24, s25
	s_cselect_b32 s9, -1, 0
	s_lshl_b32 s26, s25, 6
	s_add_nc_u64 s[20:21], s[10:11], 0x700
	s_branch .LBB0_20
.LBB0_19:                               ;   in Loop: Header=BB0_20 Depth=1
	s_or_b32 exec_lo, exec_lo, s19
	s_add_co_i32 s24, s24, 64
	s_add_co_i32 s18, s18, s26
	s_cmp_ge_i32 s24, s13
	s_cbranch_scc1 .LBB0_55
.LBB0_20:                               ; =>This Loop Header: Depth=1
                                        ;     Child Loop BB0_23 Depth 2
                                        ;     Child Loop BB0_27 Depth 2
	;; [unrolled: 1-line block ×5, first 2 shown]
	v_mov_b32_e32 v10, 0
	s_ashr_i32 s19, s18, 31
	s_delay_alu instid0(SALU_CYCLE_1)
	s_lshl_b64 s[22:23], s[18:19], 2
	s_and_saveexec_b32 s19, s2
	s_cbranch_execz .LBB0_30
; %bb.21:                               ;   in Loop: Header=BB0_20 Depth=1
	v_dual_mov_b32 v10, 0 :: v_dual_mov_b32 v2, v0
	s_and_saveexec_b32 s27, s5
	s_cbranch_execz .LBB0_25
; %bb.22:                               ;   in Loop: Header=BB0_20 Depth=1
	v_add_nc_u64_e32 v[8:9], s[22:23], v[6:7]
	v_dual_mov_b32 v10, 0 :: v_dual_mov_b32 v11, v5
	v_dual_mov_b32 v12, v4 :: v_dual_mov_b32 v2, v0
	s_mov_b32 s28, 0
.LBB0_23:                               ;   Parent Loop BB0_20 Depth=1
                                        ; =>  This Inner Loop Header: Depth=2
	global_load_b32 v13, v[8:9], off
	ds_load_b32 v21, v12
	v_dual_add_nc_u32 v11, -4, v11 :: v_dual_add_nc_u32 v2, 64, v2
	s_wait_xcnt 0x0
	v_add_nc_u64_e32 v[8:9], 0x100, v[8:9]
	v_add_nc_u32_e32 v12, 0x100, v12
	s_delay_alu instid0(VALU_DEP_3)
	v_cmp_eq_u32_e32 vcc_lo, 0, v11
	s_or_b32 s28, vcc_lo, s28
	s_wait_loadcnt_dscnt 0x0
	v_fmac_f32_e32 v10, v21, v13
	s_and_not1_b32 exec_lo, exec_lo, s28
	s_cbranch_execnz .LBB0_23
; %bb.24:                               ;   in Loop: Header=BB0_20 Depth=1
	s_or_b32 exec_lo, exec_lo, s28
.LBB0_25:                               ;   in Loop: Header=BB0_20 Depth=1
	s_delay_alu instid0(SALU_CYCLE_1)
	s_or_b32 exec_lo, exec_lo, s27
	s_and_saveexec_b32 s27, s1
	s_cbranch_execz .LBB0_29
; %bb.26:                               ;   in Loop: Header=BB0_20 Depth=1
	s_add_nc_u64 s[28:29], s[20:21], s[22:23]
	v_lshlrev_b32_e32 v11, 2, v2
	v_lshl_add_u64 v[8:9], v[2:3], 2, s[28:29]
	s_mov_b32 s28, 0
.LBB0_27:                               ;   Parent Loop BB0_20 Depth=1
                                        ; =>  This Inner Loop Header: Depth=2
	s_clause 0x7
	global_load_b32 v21, v[8:9], off offset:-1792
	global_load_b32 v28, v[8:9], off offset:-1536
	;; [unrolled: 1-line block ×7, first 2 shown]
	global_load_b32 v34, v[8:9], off
	ds_load_2addr_stride64_b32 v[12:13], v11 offset1:1
	ds_load_2addr_stride64_b32 v[22:23], v11 offset0:2 offset1:3
	ds_load_2addr_stride64_b32 v[24:25], v11 offset0:4 offset1:5
	;; [unrolled: 1-line block ×3, first 2 shown]
	v_add_nc_u32_e32 v2, 0x200, v2
	s_wait_xcnt 0x0
	v_add_nc_u64_e32 v[8:9], 0x800, v[8:9]
	v_add_nc_u32_e32 v11, 0x800, v11
	s_delay_alu instid0(VALU_DEP_3) | instskip(SKIP_4) | instid1(VALU_DEP_1)
	v_cmp_le_i32_e32 vcc_lo, s12, v2
	s_or_b32 s28, vcc_lo, s28
	s_wait_loadcnt_dscnt 0x703
	v_fmac_f32_e32 v10, v12, v21
	s_wait_loadcnt 0x6
	v_fmac_f32_e32 v10, v13, v28
	s_wait_loadcnt_dscnt 0x502
	s_delay_alu instid0(VALU_DEP_1) | instskip(SKIP_1) | instid1(VALU_DEP_1)
	v_fmac_f32_e32 v10, v22, v29
	s_wait_loadcnt 0x4
	v_fmac_f32_e32 v10, v23, v30
	s_wait_loadcnt_dscnt 0x301
	s_delay_alu instid0(VALU_DEP_1) | instskip(SKIP_1) | instid1(VALU_DEP_1)
	;; [unrolled: 5-line block ×3, first 2 shown]
	v_fmac_f32_e32 v10, v26, v33
	s_wait_loadcnt 0x0
	v_fmac_f32_e32 v10, v27, v34
	s_and_not1_b32 exec_lo, exec_lo, s28
	s_cbranch_execnz .LBB0_27
; %bb.28:                               ;   in Loop: Header=BB0_20 Depth=1
	s_or_b32 exec_lo, exec_lo, s28
.LBB0_29:                               ;   in Loop: Header=BB0_20 Depth=1
	s_delay_alu instid0(SALU_CYCLE_1)
	s_or_b32 exec_lo, exec_lo, s27
.LBB0_30:                               ;   in Loop: Header=BB0_20 Depth=1
	s_delay_alu instid0(SALU_CYCLE_1) | instskip(NEXT) | instid1(SALU_CYCLE_1)
	s_or_b32 exec_lo, exec_lo, s19
	s_and_b32 vcc_lo, exec_lo, s9
	s_cbranch_vccz .LBB0_37
; %bb.31:                               ;   in Loop: Header=BB0_20 Depth=1
	v_cmp_ne_u32_e32 vcc_lo, 31, v18
	v_add_co_ci_u32_e64 v2, null, 0, v18, vcc_lo
	v_cmp_gt_u32_e32 vcc_lo, 30, v18
	s_delay_alu instid0(VALU_DEP_2)
	v_lshlrev_b32_e32 v2, 2, v2
	v_cndmask_b32_e64 v8, 0, 2, vcc_lo
	v_cmp_gt_u32_e32 vcc_lo, 28, v18
	ds_bpermute_b32 v2, v2, v10
	v_add_lshl_u32 v8, v8, v18, 2
	v_cndmask_b32_e64 v9, 0, 4, vcc_lo
	v_cmp_gt_u32_e32 vcc_lo, 24, v18
	s_delay_alu instid0(VALU_DEP_2)
	v_add_lshl_u32 v9, v9, v18, 2
	s_wait_dscnt 0x0
	v_add_f32_e32 v2, v10, v2
	ds_bpermute_b32 v8, v8, v2
	s_wait_dscnt 0x0
	v_add_f32_e32 v2, v2, v8
	ds_bpermute_b32 v8, v9, v2
	v_cndmask_b32_e64 v9, 0, 8, vcc_lo
	s_wait_dscnt 0x0
	v_add_f32_e32 v2, v2, v8
	s_delay_alu instid0(VALU_DEP_2)
	v_add_lshl_u32 v8, v9, v18, 2
	ds_bpermute_b32 v8, v8, v2
	s_wait_dscnt 0x0
	v_add_f32_e32 v2, v2, v8
	ds_bpermute_b32 v8, v19, v2
	s_wait_dscnt 0x0
	v_add_f32_e32 v8, v2, v8
	s_and_saveexec_b32 s19, s4
; %bb.32:                               ;   in Loop: Header=BB0_20 Depth=1
	ds_store_b32 v14, v8 offset:8192
; %bb.33:                               ;   in Loop: Header=BB0_20 Depth=1
	s_or_b32 exec_lo, exec_lo, s19
	s_mov_b32 s27, 0
	s_mov_b32 s19, 0
	s_wait_dscnt 0x0
	s_barrier_signal -1
	s_barrier_wait -1
                                        ; implicit-def: $vgpr2
	s_and_saveexec_b32 s28, s0
	s_delay_alu instid0(SALU_CYCLE_1)
	s_xor_b32 s28, exec_lo, s28
	s_cbranch_execz .LBB0_35
; %bb.34:                               ;   in Loop: Header=BB0_20 Depth=1
	ds_load_b32 v2, v3 offset:8196
	s_mov_b32 s19, exec_lo
	s_wait_dscnt 0x0
	v_add_f32_e32 v2, v8, v2
.LBB0_35:                               ;   in Loop: Header=BB0_20 Depth=1
	s_or_b32 exec_lo, exec_lo, s28
	s_delay_alu instid0(SALU_CYCLE_1)
	s_and_b32 vcc_lo, exec_lo, s27
	s_cbranch_vccnz .LBB0_38
.LBB0_36:                               ;   in Loop: Header=BB0_20 Depth=1
	s_delay_alu instid0(VALU_DEP_1)
	v_mov_b32_e32 v10, v2
	s_and_saveexec_b32 s27, s19
	s_cbranch_execnz .LBB0_39
	s_branch .LBB0_40
.LBB0_37:                               ;   in Loop: Header=BB0_20 Depth=1
	s_mov_b32 s19, 0
                                        ; implicit-def: $vgpr2
	s_cbranch_execz .LBB0_36
.LBB0_38:                               ;   in Loop: Header=BB0_20 Depth=1
	s_and_not1_b32 s19, s19, exec_lo
	s_and_b32 s27, s0, exec_lo
	s_delay_alu instid0(SALU_CYCLE_1) | instskip(NEXT) | instid1(SALU_CYCLE_1)
	s_or_b32 s19, s19, s27
	s_and_saveexec_b32 s27, s19
.LBB0_39:                               ;   in Loop: Header=BB0_20 Depth=1
	ds_store_b32 v3, v10 offset:8192
.LBB0_40:                               ;   in Loop: Header=BB0_20 Depth=1
	s_or_b32 exec_lo, exec_lo, s27
	s_wait_dscnt 0x0
	s_barrier_signal -1
	s_barrier_wait -1
	s_and_saveexec_b32 s19, s2
	s_cbranch_execz .LBB0_19
; %bb.41:                               ;   in Loop: Header=BB0_20 Depth=1
	global_load_b32 v2, v3, s[14:15]
	ds_load_b32 v8, v3 offset:8192
	v_mov_b32_e32 v10, v0
	s_mov_b32 s28, -1
	s_wait_loadcnt 0x0
	v_xor_b32_e32 v2, 0x80000000, v2
	s_wait_dscnt 0x0
	s_delay_alu instid0(VALU_DEP_1)
	v_mul_f32_e32 v8, v8, v2
	v_mov_b32_e32 v2, v4
	s_wait_xcnt 0x0
	s_and_saveexec_b32 s27, s3
	s_cbranch_execz .LBB0_52
; %bb.42:                               ;   in Loop: Header=BB0_20 Depth=1
	v_mov_b64_e32 v[10:11], v[0:1]
	v_dual_mov_b32 v9, v8 :: v_dual_mov_b32 v13, 0
	s_mul_i32 s28, s24, s25
	s_and_saveexec_b32 s29, s6
	s_cbranch_execz .LBB0_46
; %bb.43:                               ;   in Loop: Header=BB0_20 Depth=1
	v_mov_b64_e32 v[10:11], v[0:1]
	v_dual_mov_b32 v2, v17 :: v_dual_mov_b32 v12, v4
	s_add_co_i32 s30, s28, 0x80
	s_add_co_i32 s31, s28, 0x100
	;; [unrolled: 1-line block ×3, first 2 shown]
	s_mov_b32 s33, s30
	s_mov_b32 s34, s31
	;; [unrolled: 1-line block ×5, first 2 shown]
.LBB0_44:                               ;   Parent Loop BB0_20 Depth=1
                                        ; =>  This Inner Loop Header: Depth=2
	v_dual_add_nc_u32 v13, s28, v10 :: v_dual_add_nc_u32 v21, s28, v11
	v_dual_add_nc_u32 v32, s33, v11 :: v_dual_add_nc_u32 v33, s30, v10
	s_add_co_i32 s38, s38, 8
	s_clause 0x1
	global_load_b32 v22, v13, s[16:17] scale_offset
	global_load_b32 v23, v21, s[16:17] scale_offset
	ds_load_2addr_stride64_b32 v[24:25], v12 offset1:1
	ds_load_2addr_stride64_b32 v[26:27], v12 offset0:2 offset1:3
	ds_load_2addr_stride64_b32 v[28:29], v12 offset0:4 offset1:5
	;; [unrolled: 1-line block ×3, first 2 shown]
	v_add_nc_u32_e32 v2, -4, v2
	v_add_nc_u32_e32 v12, 0x800, v12
	s_wait_loadcnt_dscnt 0x3
	v_pk_fma_f32 v[22:23], v[8:9], v[24:25], v[22:23]
	v_dual_add_nc_u32 v24, s35, v10 :: v_dual_add_nc_u32 v25, s37, v11
	s_clause 0x3
	global_store_b32 v13, v22, s[16:17] scale_offset
	global_store_b32 v21, v23, s[16:17] scale_offset
	global_load_b32 v22, v33, s[16:17] scale_offset
	global_load_b32 v23, v32, s[16:17] scale_offset
	v_dual_add_nc_u32 v13, s34, v11 :: v_dual_add_nc_u32 v21, s31, v10
	v_add_nc_u32_e32 v11, 0x200, v11
	v_add_nc_u32_e32 v10, 0x200, v10
	s_wait_loadcnt_dscnt 0x2
	v_pk_fma_f32 v[22:23], v[8:9], v[26:27], v[22:23]
	s_clause 0x3
	global_store_b32 v33, v22, s[16:17] scale_offset
	global_store_b32 v32, v23, s[16:17] scale_offset
	global_load_b32 v22, v21, s[16:17] scale_offset
	global_load_b32 v23, v13, s[16:17] scale_offset
	s_wait_loadcnt_dscnt 0x1
	v_pk_fma_f32 v[22:23], v[8:9], v[28:29], v[22:23]
	s_clause 0x3
	global_store_b32 v21, v22, s[16:17] scale_offset
	global_store_b32 v13, v23, s[16:17] scale_offset
	global_load_b32 v22, v24, s[16:17] scale_offset
	global_load_b32 v23, v25, s[16:17] scale_offset
	v_mov_b32_e32 v13, s38
	v_cmp_eq_u32_e32 vcc_lo, 0, v2
	s_or_b32 s36, vcc_lo, s36
	s_wait_loadcnt_dscnt 0x0
	v_pk_fma_f32 v[22:23], v[8:9], v[30:31], v[22:23]
	s_clause 0x1
	global_store_b32 v24, v22, s[16:17] scale_offset
	global_store_b32 v25, v23, s[16:17] scale_offset
	s_wait_xcnt 0x0
	s_and_not1_b32 exec_lo, exec_lo, s36
	s_cbranch_execnz .LBB0_44
; %bb.45:                               ;   in Loop: Header=BB0_20 Depth=1
	s_or_b32 exec_lo, exec_lo, s36
.LBB0_46:                               ;   in Loop: Header=BB0_20 Depth=1
	s_delay_alu instid0(SALU_CYCLE_1)
	s_or_b32 exec_lo, exec_lo, s29
	s_and_saveexec_b32 s29, s7
	s_cbranch_execz .LBB0_49
; %bb.47:                               ;   in Loop: Header=BB0_20 Depth=1
	v_lshl_or_b32 v2, v13, 8, v4
	v_mov_b32_e32 v12, v16
	s_mov_b32 s30, 0
.LBB0_48:                               ;   Parent Loop BB0_20 Depth=1
                                        ; =>  This Inner Loop Header: Depth=2
	v_dual_add_nc_u32 v13, s28, v10 :: v_dual_add_nc_u32 v21, s28, v11
	s_delay_alu instid0(VALU_DEP_2)
	v_add_nc_u32_e32 v12, -1, v12
	v_add_nc_u32_e32 v11, 0x80, v11
	v_add_nc_u32_e32 v10, 0x80, v10
	s_clause 0x1
	global_load_b32 v22, v13, s[16:17] scale_offset
	global_load_b32 v23, v21, s[16:17] scale_offset
	ds_load_2addr_stride64_b32 v[24:25], v2 offset1:1
	v_cmp_eq_u32_e32 vcc_lo, 0, v12
	v_add_nc_u32_e32 v2, 0x200, v2
	s_or_b32 s30, vcc_lo, s30
	s_wait_loadcnt_dscnt 0x0
	v_pk_fma_f32 v[22:23], v[8:9], v[24:25], v[22:23]
	s_clause 0x1
	global_store_b32 v13, v22, s[16:17] scale_offset
	global_store_b32 v21, v23, s[16:17] scale_offset
	s_wait_xcnt 0x0
	s_and_not1_b32 exec_lo, exec_lo, s30
	s_cbranch_execnz .LBB0_48
.LBB0_49:                               ;   in Loop: Header=BB0_20 Depth=1
	s_or_b32 exec_lo, exec_lo, s29
	s_mov_b32 s28, 0
	s_and_saveexec_b32 s29, s8
; %bb.50:                               ;   in Loop: Header=BB0_20 Depth=1
	s_mov_b32 s28, exec_lo
; %bb.51:                               ;   in Loop: Header=BB0_20 Depth=1
	s_or_b32 exec_lo, exec_lo, s29
	v_dual_mov_b32 v10, v15 :: v_dual_mov_b32 v2, v20
	s_or_not1_b32 s28, s28, exec_lo
.LBB0_52:                               ;   in Loop: Header=BB0_20 Depth=1
	s_or_b32 exec_lo, exec_lo, s27
	s_delay_alu instid0(SALU_CYCLE_1)
	s_and_b32 exec_lo, exec_lo, s28
	s_cbranch_execz .LBB0_19
; %bb.53:                               ;   in Loop: Header=BB0_20 Depth=1
	v_ashrrev_i32_e32 v11, 31, v10
	s_add_nc_u64 s[22:23], s[10:11], s[22:23]
	s_delay_alu instid0(VALU_DEP_1) | instid1(SALU_CYCLE_1)
	v_lshl_add_u64 v[12:13], v[10:11], 2, s[22:23]
	s_mov_b32 s22, 0
.LBB0_54:                               ;   Parent Loop BB0_20 Depth=1
                                        ; =>  This Inner Loop Header: Depth=2
	global_load_b32 v9, v[12:13], off
	ds_load_b32 v11, v2
	v_add_nc_u32_e32 v10, 64, v10
	s_wait_loadcnt_dscnt 0x0
	v_dual_fmac_f32 v9, v8, v11 :: v_dual_add_nc_u32 v2, 0x100, v2
	s_delay_alu instid0(VALU_DEP_2) | instskip(SKIP_4) | instid1(SALU_CYCLE_1)
	v_cmp_le_i32_e32 vcc_lo, s12, v10
	global_store_b32 v[12:13], v9, off
	s_wait_xcnt 0x0
	v_add_nc_u64_e32 v[12:13], 0x100, v[12:13]
	s_or_b32 s22, vcc_lo, s22
	s_and_not1_b32 exec_lo, exec_lo, s22
	s_cbranch_execnz .LBB0_54
	s_branch .LBB0_19
.LBB0_55:
	s_endpgm
	.section	.rodata,"a",@progbits
	.p2align	6, 0x0
	.amdhsa_kernel _ZN9rocsolver6v33100L22larf_left_kernel_smallILi64EfiPfEEvT1_S3_T2_lS3_lPKT0_lS4_lS3_l
		.amdhsa_group_segment_fixed_size 8448
		.amdhsa_private_segment_fixed_size 0
		.amdhsa_kernarg_size 88
		.amdhsa_user_sgpr_count 2
		.amdhsa_user_sgpr_dispatch_ptr 0
		.amdhsa_user_sgpr_queue_ptr 0
		.amdhsa_user_sgpr_kernarg_segment_ptr 1
		.amdhsa_user_sgpr_dispatch_id 0
		.amdhsa_user_sgpr_kernarg_preload_length 0
		.amdhsa_user_sgpr_kernarg_preload_offset 0
		.amdhsa_user_sgpr_private_segment_size 0
		.amdhsa_wavefront_size32 1
		.amdhsa_uses_dynamic_stack 0
		.amdhsa_enable_private_segment 0
		.amdhsa_system_sgpr_workgroup_id_x 1
		.amdhsa_system_sgpr_workgroup_id_y 1
		.amdhsa_system_sgpr_workgroup_id_z 0
		.amdhsa_system_sgpr_workgroup_info 0
		.amdhsa_system_vgpr_workitem_id 0
		.amdhsa_next_free_vgpr 81
		.amdhsa_next_free_sgpr 39
		.amdhsa_named_barrier_count 0
		.amdhsa_reserve_vcc 1
		.amdhsa_float_round_mode_32 0
		.amdhsa_float_round_mode_16_64 0
		.amdhsa_float_denorm_mode_32 3
		.amdhsa_float_denorm_mode_16_64 3
		.amdhsa_fp16_overflow 0
		.amdhsa_memory_ordered 1
		.amdhsa_forward_progress 1
		.amdhsa_inst_pref_size 25
		.amdhsa_round_robin_scheduling 0
		.amdhsa_exception_fp_ieee_invalid_op 0
		.amdhsa_exception_fp_denorm_src 0
		.amdhsa_exception_fp_ieee_div_zero 0
		.amdhsa_exception_fp_ieee_overflow 0
		.amdhsa_exception_fp_ieee_underflow 0
		.amdhsa_exception_fp_ieee_inexact 0
		.amdhsa_exception_int_div_zero 0
	.end_amdhsa_kernel
	.section	.text._ZN9rocsolver6v33100L22larf_left_kernel_smallILi64EfiPfEEvT1_S3_T2_lS3_lPKT0_lS4_lS3_l,"axG",@progbits,_ZN9rocsolver6v33100L22larf_left_kernel_smallILi64EfiPfEEvT1_S3_T2_lS3_lPKT0_lS4_lS3_l,comdat
.Lfunc_end0:
	.size	_ZN9rocsolver6v33100L22larf_left_kernel_smallILi64EfiPfEEvT1_S3_T2_lS3_lPKT0_lS4_lS3_l, .Lfunc_end0-_ZN9rocsolver6v33100L22larf_left_kernel_smallILi64EfiPfEEvT1_S3_T2_lS3_lPKT0_lS4_lS3_l
                                        ; -- End function
	.set _ZN9rocsolver6v33100L22larf_left_kernel_smallILi64EfiPfEEvT1_S3_T2_lS3_lPKT0_lS4_lS3_l.num_vgpr, 35
	.set _ZN9rocsolver6v33100L22larf_left_kernel_smallILi64EfiPfEEvT1_S3_T2_lS3_lPKT0_lS4_lS3_l.num_agpr, 0
	.set _ZN9rocsolver6v33100L22larf_left_kernel_smallILi64EfiPfEEvT1_S3_T2_lS3_lPKT0_lS4_lS3_l.numbered_sgpr, 39
	.set _ZN9rocsolver6v33100L22larf_left_kernel_smallILi64EfiPfEEvT1_S3_T2_lS3_lPKT0_lS4_lS3_l.num_named_barrier, 0
	.set _ZN9rocsolver6v33100L22larf_left_kernel_smallILi64EfiPfEEvT1_S3_T2_lS3_lPKT0_lS4_lS3_l.private_seg_size, 0
	.set _ZN9rocsolver6v33100L22larf_left_kernel_smallILi64EfiPfEEvT1_S3_T2_lS3_lPKT0_lS4_lS3_l.uses_vcc, 1
	.set _ZN9rocsolver6v33100L22larf_left_kernel_smallILi64EfiPfEEvT1_S3_T2_lS3_lPKT0_lS4_lS3_l.uses_flat_scratch, 0
	.set _ZN9rocsolver6v33100L22larf_left_kernel_smallILi64EfiPfEEvT1_S3_T2_lS3_lPKT0_lS4_lS3_l.has_dyn_sized_stack, 0
	.set _ZN9rocsolver6v33100L22larf_left_kernel_smallILi64EfiPfEEvT1_S3_T2_lS3_lPKT0_lS4_lS3_l.has_recursion, 0
	.set _ZN9rocsolver6v33100L22larf_left_kernel_smallILi64EfiPfEEvT1_S3_T2_lS3_lPKT0_lS4_lS3_l.has_indirect_call, 0
	.section	.AMDGPU.csdata,"",@progbits
; Kernel info:
; codeLenInByte = 3192
; TotalNumSgprs: 41
; NumVgprs: 35
; ScratchSize: 0
; MemoryBound: 0
; FloatMode: 240
; IeeeMode: 1
; LDSByteSize: 8448 bytes/workgroup (compile time only)
; SGPRBlocks: 0
; VGPRBlocks: 5
; NumSGPRsForWavesPerEU: 41
; NumVGPRsForWavesPerEU: 81
; NamedBarCnt: 0
; Occupancy: 10
; WaveLimiterHint : 1
; COMPUTE_PGM_RSRC2:SCRATCH_EN: 0
; COMPUTE_PGM_RSRC2:USER_SGPR: 2
; COMPUTE_PGM_RSRC2:TRAP_HANDLER: 0
; COMPUTE_PGM_RSRC2:TGID_X_EN: 1
; COMPUTE_PGM_RSRC2:TGID_Y_EN: 1
; COMPUTE_PGM_RSRC2:TGID_Z_EN: 0
; COMPUTE_PGM_RSRC2:TIDIG_COMP_CNT: 0
	.section	.text._ZN9rocsolver6v33100L22larf_left_kernel_smallILi128EfiPfEEvT1_S3_T2_lS3_lPKT0_lS4_lS3_l,"axG",@progbits,_ZN9rocsolver6v33100L22larf_left_kernel_smallILi128EfiPfEEvT1_S3_T2_lS3_lPKT0_lS4_lS3_l,comdat
	.globl	_ZN9rocsolver6v33100L22larf_left_kernel_smallILi128EfiPfEEvT1_S3_T2_lS3_lPKT0_lS4_lS3_l ; -- Begin function _ZN9rocsolver6v33100L22larf_left_kernel_smallILi128EfiPfEEvT1_S3_T2_lS3_lPKT0_lS4_lS3_l
	.p2align	8
	.type	_ZN9rocsolver6v33100L22larf_left_kernel_smallILi128EfiPfEEvT1_S3_T2_lS3_lPKT0_lS4_lS3_l,@function
_ZN9rocsolver6v33100L22larf_left_kernel_smallILi128EfiPfEEvT1_S3_T2_lS3_lPKT0_lS4_lS3_l: ; @_ZN9rocsolver6v33100L22larf_left_kernel_smallILi128EfiPfEEvT1_S3_T2_lS3_lPKT0_lS4_lS3_l
; %bb.0:
	s_clause 0x2
	s_load_b64 s[12:13], s[0:1], 0x0
	s_load_b256 s[4:11], s[0:1], 0x20
	s_load_b64 s[14:15], s[0:1], 0x40
	s_bfe_u32 s2, ttmp6, 0x4000c
	s_and_b32 s3, ttmp6, 15
	s_add_co_i32 s2, s2, 1
	s_getreg_b32 s18, hwreg(HW_REG_IB_STS2, 6, 4)
	s_mul_i32 s2, ttmp9, s2
	s_delay_alu instid0(SALU_CYCLE_1)
	s_add_co_i32 s3, s3, s2
	s_cmp_eq_u32 s18, 0
	s_cselect_b32 s16, ttmp9, s3
	s_mov_b32 s3, 0
	s_ashr_i32 s17, s16, 31
	s_wait_kmcnt 0x0
	v_cmp_gt_i32_e64 s2, s12, v0
	v_xad_u32 v4, v0, -1, s12
	s_and_saveexec_b32 s19, s2
	s_cbranch_execz .LBB1_17
; %bb.1:
	s_clause 0x1
	s_load_b128 s[24:27], s[0:1], 0x8
	s_load_b32 s20, s[0:1], 0x18
	s_mul_u64 s[4:5], s[4:5], s[16:17]
	s_sub_co_i32 s21, 1, s12
	s_lshl_b64 s[4:5], s[4:5], 2
                                        ; implicit-def: $vgpr1
                                        ; implicit-def: $vgpr2
	s_wait_kmcnt 0x0
	s_lshl_b64 s[22:23], s[26:27], 2
	s_add_nc_u64 s[4:5], s[24:25], s[4:5]
	s_mul_i32 s21, s20, s21
	s_cmp_lt_i32 s20, 1
	s_add_nc_u64 s[4:5], s[4:5], s[22:23]
	s_cselect_b32 s21, s21, 0
	s_mov_b32 s24, -1
	s_mov_b32 s22, exec_lo
	v_cmpx_lt_u32_e32 0xc7f, v4
	s_xor_b32 s22, exec_lo, s22
	s_cbranch_execnz .LBB1_4
; %bb.2:
	s_and_not1_saveexec_b32 s22, s22
	s_cbranch_execnz .LBB1_14
.LBB1_3:
	s_or_b32 exec_lo, exec_lo, s22
	s_delay_alu instid0(SALU_CYCLE_1)
	s_and_b32 exec_lo, exec_lo, s3
	s_cbranch_execnz .LBB1_15
	s_branch .LBB1_17
.LBB1_4:
	s_lshl_b32 s23, s20, 7
	v_mad_u32 v1, v0, s20, s21
	s_sub_co_i32 s3, 0, s23
	s_cmp_lt_i32 s23, 0
	v_lshrrev_b32_e32 v5, 7, v4
	s_cselect_b32 vcc_lo, -1, 0
	s_delay_alu instid0(SALU_CYCLE_1)
	s_and_b32 s25, vcc_lo, exec_lo
	s_cselect_b32 s25, s3, s23
	s_delay_alu instid0(VALU_DEP_1) | instid1(SALU_CYCLE_1)
	v_mul_lo_u32 v2, s25, v5
	s_delay_alu instid0(VALU_DEP_1) | instskip(NEXT) | instid1(VALU_DEP_1)
	v_sub_nc_u32_e32 v3, v1, v2
	v_cmp_gt_i32_e64 s3, v3, v1
	s_delay_alu instid0(VALU_DEP_1) | instskip(SKIP_1) | instid1(VALU_DEP_1)
	v_cndmask_b32_e64 v3, 0, 1, s3
	v_add_nc_u32_e32 v2, v1, v2
	v_cmp_lt_i32_e64 s3, v2, v1
	v_mul_hi_u32 v2, s25, v5
	s_delay_alu instid0(VALU_DEP_2) | instskip(NEXT) | instid1(VALU_DEP_1)
	v_cndmask_b32_e64 v1, 0, 1, s3
	v_cndmask_b32_e32 v1, v1, v3, vcc_lo
	s_delay_alu instid0(VALU_DEP_3) | instskip(NEXT) | instid1(VALU_DEP_2)
	v_cmp_eq_u32_e64 s3, 0, v2
	v_and_b32_e32 v1, 1, v1
	s_delay_alu instid0(VALU_DEP_1) | instskip(SKIP_2) | instid1(SALU_CYCLE_1)
	v_cmp_eq_u32_e32 vcc_lo, 1, v1
	v_mov_b32_e32 v1, v0
	s_xor_b32 s25, vcc_lo, -1
	s_and_b32 s25, s25, s3
	s_delay_alu instid0(SALU_CYCLE_1)
	s_and_saveexec_b32 s3, s25
	s_cbranch_execz .LBB1_13
; %bb.5:
	v_dual_mov_b32 v9, 0 :: v_dual_add_nc_u32 v2, -1, v5
	v_or_b32_e32 v1, 0x80, v0
	s_delay_alu instid0(VALU_DEP_2) | instskip(SKIP_1) | instid1(VALU_DEP_2)
	v_lshrrev_b32_e32 v3, 1, v2
	v_cmp_lt_u32_e32 vcc_lo, 5, v2
	v_add_nc_u32_e32 v6, 1, v3
	s_delay_alu instid0(VALU_DEP_4)
	v_mov_b64_e32 v[2:3], v[0:1]
	s_and_saveexec_b32 s24, vcc_lo
	s_cbranch_execz .LBB1_9
; %bb.6:
	v_mov_b64_e32 v[2:3], v[0:1]
	v_dual_lshlrev_b32 v8, 2, v0 :: v_dual_bitop2_b32 v7, -4, v6 bitop3:0x40
	s_mov_b32 s25, 0
	s_mov_b32 s26, 0
.LBB1_7:                                ; =>This Inner Loop Header: Depth=1
	s_delay_alu instid0(VALU_DEP_2)
	v_add_nc_u32_e32 v11, 0x300, v3
	v_add_nc_u32_e32 v12, 0x200, v3
	;; [unrolled: 1-line block ×3, first 2 shown]
	v_mad_u32 v9, v2, s20, s21
	s_add_co_i32 s26, s26, 8
	v_add_nc_u32_e32 v10, 0x100, v2
	v_add_nc_u32_e32 v14, 0x200, v2
	v_mad_u32 v11, v11, s20, s21
	v_add_nc_u32_e32 v15, 0x300, v2
	v_mad_u32 v12, v12, s20, s21
	v_mad_u32 v13, v13, s20, s21
	;; [unrolled: 1-line block ×6, first 2 shown]
	s_clause 0x7
	global_load_b32 v16, v9, s[4:5] scale_offset
	global_load_b32 v17, v11, s[4:5] scale_offset
	;; [unrolled: 1-line block ×8, first 2 shown]
	v_add_nc_u32_e32 v7, -4, v7
	v_add_nc_u32_e32 v3, 0x400, v3
	s_wait_xcnt 0x7
	v_dual_mov_b32 v9, s26 :: v_dual_add_nc_u32 v2, 0x400, v2
	s_wait_loadcnt 0x3
	ds_store_2addr_stride64_b32 v8, v16, v20 offset1:2
	s_wait_loadcnt 0x2
	ds_store_2addr_stride64_b32 v8, v21, v19 offset0:4 offset1:6
	s_wait_loadcnt 0x1
	ds_store_2addr_stride64_b32 v8, v22, v18 offset0:8 offset1:10
	;; [unrolled: 2-line block ×3, first 2 shown]
	v_cmp_eq_u32_e32 vcc_lo, 0, v7
	v_add_nc_u32_e32 v8, 0x1000, v8
	s_or_b32 s25, vcc_lo, s25
	s_wait_xcnt 0x0
	s_and_not1_b32 exec_lo, exec_lo, s25
	s_cbranch_execnz .LBB1_7
; %bb.8:
	s_or_b32 exec_lo, exec_lo, s25
.LBB1_9:
	s_delay_alu instid0(SALU_CYCLE_1) | instskip(SKIP_3) | instid1(VALU_DEP_1)
	s_or_b32 exec_lo, exec_lo, s24
	v_and_b32_e32 v1, 3, v6
	s_mov_b32 s25, 0
	s_mov_b32 s24, exec_lo
	v_cmpx_ne_u32_e32 0, v1
	s_cbranch_execz .LBB1_12
; %bb.10:
	v_lshlrev_b32_e32 v6, 2, v0
	s_delay_alu instid0(VALU_DEP_1)
	v_lshl_or_b32 v6, v9, 9, v6
.LBB1_11:                               ; =>This Inner Loop Header: Depth=1
	v_mad_u32 v7, v2, s20, s21
	v_mad_u32 v8, v3, s20, s21
	v_add_nc_u32_e32 v1, -1, v1
	v_add_nc_u32_e32 v3, 0x100, v3
	v_add_nc_u32_e32 v2, 0x100, v2
	s_clause 0x1
	global_load_b32 v9, v7, s[4:5] scale_offset
	global_load_b32 v10, v8, s[4:5] scale_offset
	v_cmp_eq_u32_e32 vcc_lo, 0, v1
	s_or_b32 s25, vcc_lo, s25
	s_wait_loadcnt 0x0
	ds_store_2addr_stride64_b32 v6, v9, v10 offset1:2
	v_add_nc_u32_e32 v6, 0x400, v6
	s_and_not1_b32 exec_lo, exec_lo, s25
	s_cbranch_execnz .LBB1_11
.LBB1_12:
	s_or_b32 exec_lo, exec_lo, s24
	v_add_nc_u32_e32 v1, 1, v5
	s_delay_alu instid0(VALU_DEP_1) | instskip(NEXT) | instid1(VALU_DEP_1)
	v_and_b32_e32 v2, 0x3fffffe, v1
	v_cmp_ne_u32_e32 vcc_lo, v1, v2
	v_lshl_or_b32 v1, v2, 7, v0
	s_or_not1_b32 s24, vcc_lo, exec_lo
.LBB1_13:
	s_or_b32 exec_lo, exec_lo, s3
	v_mov_b32_e32 v2, s23
	s_and_b32 s3, s24, exec_lo
	s_and_not1_saveexec_b32 s22, s22
	s_cbranch_execz .LBB1_3
.LBB1_14:
	s_lshl_b32 s23, s20, 7
	s_or_b32 s3, s3, exec_lo
	v_dual_mov_b32 v2, s23 :: v_dual_mov_b32 v1, v0
	s_or_b32 exec_lo, exec_lo, s22
	s_delay_alu instid0(SALU_CYCLE_1)
	s_and_b32 exec_lo, exec_lo, s3
	s_cbranch_execz .LBB1_17
.LBB1_15:
	s_delay_alu instid0(VALU_DEP_1)
	v_mad_u32 v3, v1, s20, s21
	v_lshlrev_b32_e32 v5, 2, v1
	s_mov_b32 s3, 0
.LBB1_16:                               ; =>This Inner Loop Header: Depth=1
	global_load_b32 v6, v3, s[4:5] scale_offset
	v_add_nc_u32_e32 v1, 0x80, v1
	s_wait_xcnt 0x0
	v_add_nc_u32_e32 v3, v3, v2
	s_delay_alu instid0(VALU_DEP_2)
	v_cmp_le_i32_e32 vcc_lo, s12, v1
	s_or_b32 s3, vcc_lo, s3
	s_wait_loadcnt 0x0
	ds_store_b32 v5, v6
	v_add_nc_u32_e32 v5, 0x200, v5
	s_and_not1_b32 exec_lo, exec_lo, s3
	s_cbranch_execnz .LBB1_16
.LBB1_17:
	s_or_b32 exec_lo, exec_lo, s19
	s_bfe_u32 s3, ttmp6, 0x40010
	s_bfe_u32 s4, ttmp6, 0x40004
	s_add_co_i32 s3, s3, 1
	s_wait_dscnt 0x0
	s_mul_i32 s3, ttmp7, s3
	s_barrier_signal -1
	s_add_co_i32 s4, s4, s3
	s_cmp_eq_u32 s18, 0
	s_barrier_wait -1
	s_cselect_b32 s24, ttmp7, s4
	s_delay_alu instid0(SALU_CYCLE_1)
	s_cmp_ge_i32 s24, s13
	s_cbranch_scc1 .LBB1_55
; %bb.18:
	s_clause 0x1
	s_load_b64 s[18:19], s[0:1], 0x50
	s_load_b32 s25, s[0:1], 0x48
	v_lshrrev_b32_e32 v1, 7, v4
	s_mul_u64 s[4:5], s[8:9], s[16:17]
	v_dual_lshrrev_b32 v14, 3, v0 :: v_dual_bitop2_b32 v2, 31, v0 bitop3:0x40
	s_lshl_b64 s[4:5], s[4:5], 2
	s_delay_alu instid0(VALU_DEP_2)
	v_add_nc_u32_e32 v6, 1, v1
	s_lshl_b64 s[20:21], s[14:15], 2
	s_add_nc_u64 s[14:15], s[6:7], s[4:5]
	v_cmp_eq_u32_e64 s4, 0, v2
	s_wait_xcnt 0x0
	v_cmp_lt_u32_e64 s1, 0x37f, v4
	v_dual_add_nc_u32 v5, -1, v1 :: v_dual_bitop2_b32 v8, 7, v6 bitop3:0x40
	v_cmp_lt_u32_e64 s3, 0x7f, v4
	v_mbcnt_lo_u32_b32 v18, -1, 0
	v_mov_b32_e32 v3, 0
	v_cmp_eq_u32_e64 s0, 0, v0
	v_lshrrev_b32_e32 v1, 1, v5
	v_cmp_ne_u32_e64 s5, 0, v8
	s_wait_kmcnt 0x0
	s_mul_u64 s[6:7], s[18:19], s[16:17]
	v_lshl_or_b32 v19, v18, 2, 64
	s_lshl_b64 s[18:19], s[6:7], 2
	v_add_nc_u32_e32 v2, 1, v1
	s_add_nc_u64 s[6:7], s[10:11], s[18:19]
	s_add_nc_u64 s[18:19], s[18:19], s[20:21]
	;; [unrolled: 1-line block ×3, first 2 shown]
	v_cmp_lt_u32_e64 s6, 5, v5
	v_and_b32_e32 v16, 3, v2
	v_and_b32_e32 v7, 0x3fffffe, v6
	v_dual_lshlrev_b32 v4, 2, v0 :: v_dual_bitop2_b32 v17, -4, v2 bitop3:0x40
	v_dual_mov_b32 v5, v3 :: v_dual_mov_b32 v20, 0x2004
	s_add_nc_u64 s[10:11], s[10:11], s[18:19]
	s_delay_alu instid0(VALU_DEP_3) | instskip(SKIP_1) | instid1(VALU_DEP_3)
	v_lshl_or_b32 v15, v7, 7, v0
	v_cmp_ne_u32_e64 s8, v6, v7
	v_add_nc_u64_e32 v[6:7], s[10:11], v[4:5]
	v_or_b32_e32 v1, 0x80, v0
	v_cmp_ne_u32_e64 s7, 0, v16
	v_lshlrev_b32_e32 v5, 2, v8
	s_cmp_gt_i32 s12, 1
	s_mul_i32 s18, s24, s25
	s_cselect_b32 s9, -1, 0
	s_lshl_b32 s26, s25, 6
	s_add_nc_u64 s[20:21], s[10:11], 0xe00
	s_branch .LBB1_20
.LBB1_19:                               ;   in Loop: Header=BB1_20 Depth=1
	s_or_b32 exec_lo, exec_lo, s19
	s_add_co_i32 s24, s24, 64
	s_add_co_i32 s18, s18, s26
	s_cmp_ge_i32 s24, s13
	s_cbranch_scc1 .LBB1_55
.LBB1_20:                               ; =>This Loop Header: Depth=1
                                        ;     Child Loop BB1_23 Depth 2
                                        ;     Child Loop BB1_27 Depth 2
	;; [unrolled: 1-line block ×5, first 2 shown]
	v_mov_b32_e32 v10, 0
	s_ashr_i32 s19, s18, 31
	s_delay_alu instid0(SALU_CYCLE_1)
	s_lshl_b64 s[22:23], s[18:19], 2
	s_and_saveexec_b32 s19, s2
	s_cbranch_execz .LBB1_30
; %bb.21:                               ;   in Loop: Header=BB1_20 Depth=1
	v_dual_mov_b32 v10, 0 :: v_dual_mov_b32 v2, v0
	s_and_saveexec_b32 s27, s5
	s_cbranch_execz .LBB1_25
; %bb.22:                               ;   in Loop: Header=BB1_20 Depth=1
	v_add_nc_u64_e32 v[8:9], s[22:23], v[6:7]
	v_dual_mov_b32 v10, 0 :: v_dual_mov_b32 v11, v5
	v_dual_mov_b32 v12, v4 :: v_dual_mov_b32 v2, v0
	s_mov_b32 s28, 0
.LBB1_23:                               ;   Parent Loop BB1_20 Depth=1
                                        ; =>  This Inner Loop Header: Depth=2
	global_load_b32 v13, v[8:9], off
	ds_load_b32 v21, v12
	v_add_nc_u32_e32 v11, -4, v11
	s_wait_xcnt 0x0
	v_add_nc_u64_e32 v[8:9], 0x200, v[8:9]
	v_add_nc_u32_e32 v2, 0x80, v2
	v_add_nc_u32_e32 v12, 0x200, v12
	s_wait_loadcnt_dscnt 0x0
	v_fmac_f32_e32 v10, v21, v13
	v_cmp_eq_u32_e32 vcc_lo, 0, v11
	s_or_b32 s28, vcc_lo, s28
	s_delay_alu instid0(SALU_CYCLE_1)
	s_and_not1_b32 exec_lo, exec_lo, s28
	s_cbranch_execnz .LBB1_23
; %bb.24:                               ;   in Loop: Header=BB1_20 Depth=1
	s_or_b32 exec_lo, exec_lo, s28
.LBB1_25:                               ;   in Loop: Header=BB1_20 Depth=1
	s_delay_alu instid0(SALU_CYCLE_1)
	s_or_b32 exec_lo, exec_lo, s27
	s_and_saveexec_b32 s27, s1
	s_cbranch_execz .LBB1_29
; %bb.26:                               ;   in Loop: Header=BB1_20 Depth=1
	s_add_nc_u64 s[28:29], s[20:21], s[22:23]
	v_lshlrev_b32_e32 v11, 2, v2
	v_lshl_add_u64 v[8:9], v[2:3], 2, s[28:29]
	s_mov_b32 s28, 0
.LBB1_27:                               ;   Parent Loop BB1_20 Depth=1
                                        ; =>  This Inner Loop Header: Depth=2
	s_clause 0x7
	global_load_b32 v21, v[8:9], off offset:-3584
	global_load_b32 v26, v[8:9], off offset:-3072
	;; [unrolled: 1-line block ×7, first 2 shown]
	global_load_b32 v32, v[8:9], off
	ds_load_2addr_stride64_b32 v[12:13], v11 offset1:2
	ds_load_2addr_stride64_b32 v[22:23], v11 offset0:4 offset1:6
	ds_load_2addr_stride64_b32 v[24:25], v11 offset0:8 offset1:10
	v_add_nc_u32_e32 v2, 0x400, v2
	s_wait_xcnt 0x0
	v_add_nc_u64_e32 v[8:9], 0x1000, v[8:9]
	s_delay_alu instid0(VALU_DEP_2) | instskip(SKIP_4) | instid1(VALU_DEP_1)
	v_cmp_le_i32_e32 vcc_lo, s12, v2
	s_or_b32 s28, vcc_lo, s28
	s_wait_loadcnt_dscnt 0x702
	v_fmac_f32_e32 v10, v12, v21
	s_wait_loadcnt 0x6
	v_fmac_f32_e32 v10, v13, v26
	ds_load_2addr_stride64_b32 v[12:13], v11 offset0:12 offset1:14
	v_add_nc_u32_e32 v11, 0x1000, v11
	s_wait_loadcnt_dscnt 0x502
	v_fmac_f32_e32 v10, v22, v27
	s_wait_loadcnt 0x4
	s_delay_alu instid0(VALU_DEP_1) | instskip(SKIP_1) | instid1(VALU_DEP_1)
	v_fmac_f32_e32 v10, v23, v28
	s_wait_loadcnt_dscnt 0x301
	v_fmac_f32_e32 v10, v24, v29
	s_wait_loadcnt 0x2
	s_delay_alu instid0(VALU_DEP_1) | instskip(SKIP_1) | instid1(VALU_DEP_1)
	v_fmac_f32_e32 v10, v25, v30
	s_wait_loadcnt_dscnt 0x100
	v_fmac_f32_e32 v10, v12, v31
	s_wait_loadcnt 0x0
	s_delay_alu instid0(VALU_DEP_1)
	v_fmac_f32_e32 v10, v13, v32
	s_and_not1_b32 exec_lo, exec_lo, s28
	s_cbranch_execnz .LBB1_27
; %bb.28:                               ;   in Loop: Header=BB1_20 Depth=1
	s_or_b32 exec_lo, exec_lo, s28
.LBB1_29:                               ;   in Loop: Header=BB1_20 Depth=1
	s_delay_alu instid0(SALU_CYCLE_1)
	s_or_b32 exec_lo, exec_lo, s27
.LBB1_30:                               ;   in Loop: Header=BB1_20 Depth=1
	s_delay_alu instid0(SALU_CYCLE_1) | instskip(NEXT) | instid1(SALU_CYCLE_1)
	s_or_b32 exec_lo, exec_lo, s19
	s_and_b32 vcc_lo, exec_lo, s9
	s_cbranch_vccz .LBB1_37
; %bb.31:                               ;   in Loop: Header=BB1_20 Depth=1
	v_cmp_ne_u32_e32 vcc_lo, 31, v18
	v_add_co_ci_u32_e64 v2, null, 0, v18, vcc_lo
	v_cmp_gt_u32_e32 vcc_lo, 30, v18
	s_delay_alu instid0(VALU_DEP_2)
	v_lshlrev_b32_e32 v2, 2, v2
	v_cndmask_b32_e64 v8, 0, 2, vcc_lo
	v_cmp_gt_u32_e32 vcc_lo, 28, v18
	ds_bpermute_b32 v2, v2, v10
	v_add_lshl_u32 v8, v8, v18, 2
	v_cndmask_b32_e64 v9, 0, 4, vcc_lo
	v_cmp_gt_u32_e32 vcc_lo, 24, v18
	s_delay_alu instid0(VALU_DEP_2)
	v_add_lshl_u32 v9, v9, v18, 2
	s_wait_dscnt 0x0
	v_add_f32_e32 v2, v10, v2
	ds_bpermute_b32 v8, v8, v2
	s_wait_dscnt 0x0
	v_add_f32_e32 v2, v2, v8
	ds_bpermute_b32 v8, v9, v2
	v_cndmask_b32_e64 v9, 0, 8, vcc_lo
	s_wait_dscnt 0x0
	v_add_f32_e32 v2, v2, v8
	s_delay_alu instid0(VALU_DEP_2)
	v_add_lshl_u32 v8, v9, v18, 2
	ds_bpermute_b32 v8, v8, v2
	s_wait_dscnt 0x0
	v_add_f32_e32 v2, v2, v8
	ds_bpermute_b32 v8, v19, v2
	s_wait_dscnt 0x0
	v_add_f32_e32 v8, v2, v8
	s_and_saveexec_b32 s19, s4
; %bb.32:                               ;   in Loop: Header=BB1_20 Depth=1
	ds_store_b32 v14, v8 offset:8192
; %bb.33:                               ;   in Loop: Header=BB1_20 Depth=1
	s_or_b32 exec_lo, exec_lo, s19
	s_mov_b32 s27, 0
	s_mov_b32 s19, 0
	s_wait_dscnt 0x0
	s_barrier_signal -1
	s_barrier_wait -1
                                        ; implicit-def: $vgpr2
	s_and_saveexec_b32 s28, s0
	s_delay_alu instid0(SALU_CYCLE_1)
	s_xor_b32 s28, exec_lo, s28
	s_cbranch_execz .LBB1_35
; %bb.34:                               ;   in Loop: Header=BB1_20 Depth=1
	ds_load_2addr_b32 v[12:13], v20 offset1:1
	ds_load_b32 v2, v3 offset:8204
	s_mov_b32 s19, exec_lo
	s_wait_dscnt 0x1
	v_add_f32_e32 v8, v8, v12
	s_delay_alu instid0(VALU_DEP_1) | instskip(SKIP_1) | instid1(VALU_DEP_1)
	v_add_f32_e32 v8, v8, v13
	s_wait_dscnt 0x0
	v_add_f32_e32 v2, v8, v2
.LBB1_35:                               ;   in Loop: Header=BB1_20 Depth=1
	s_or_b32 exec_lo, exec_lo, s28
	s_delay_alu instid0(SALU_CYCLE_1)
	s_and_b32 vcc_lo, exec_lo, s27
	s_cbranch_vccnz .LBB1_38
.LBB1_36:                               ;   in Loop: Header=BB1_20 Depth=1
	s_delay_alu instid0(VALU_DEP_1)
	v_mov_b32_e32 v10, v2
	s_and_saveexec_b32 s27, s19
	s_cbranch_execnz .LBB1_39
	s_branch .LBB1_40
.LBB1_37:                               ;   in Loop: Header=BB1_20 Depth=1
	s_mov_b32 s19, 0
                                        ; implicit-def: $vgpr2
	s_cbranch_execz .LBB1_36
.LBB1_38:                               ;   in Loop: Header=BB1_20 Depth=1
	s_and_not1_b32 s19, s19, exec_lo
	s_and_b32 s27, s0, exec_lo
	s_delay_alu instid0(SALU_CYCLE_1) | instskip(NEXT) | instid1(SALU_CYCLE_1)
	s_or_b32 s19, s19, s27
	s_and_saveexec_b32 s27, s19
.LBB1_39:                               ;   in Loop: Header=BB1_20 Depth=1
	ds_store_b32 v3, v10 offset:8192
.LBB1_40:                               ;   in Loop: Header=BB1_20 Depth=1
	s_or_b32 exec_lo, exec_lo, s27
	s_wait_dscnt 0x0
	s_barrier_signal -1
	s_barrier_wait -1
	s_and_saveexec_b32 s19, s2
	s_cbranch_execz .LBB1_19
; %bb.41:                               ;   in Loop: Header=BB1_20 Depth=1
	global_load_b32 v2, v3, s[14:15]
	ds_load_b32 v8, v3 offset:8192
	v_mov_b32_e32 v10, v0
	s_mov_b32 s28, -1
	s_wait_loadcnt 0x0
	v_xor_b32_e32 v2, 0x80000000, v2
	s_wait_dscnt 0x0
	s_delay_alu instid0(VALU_DEP_1)
	v_mul_f32_e32 v8, v8, v2
	v_mov_b32_e32 v2, v4
	s_wait_xcnt 0x0
	s_and_saveexec_b32 s27, s3
	s_cbranch_execz .LBB1_52
; %bb.42:                               ;   in Loop: Header=BB1_20 Depth=1
	v_mov_b64_e32 v[10:11], v[0:1]
	v_dual_mov_b32 v9, v8 :: v_dual_mov_b32 v13, 0
	s_mul_i32 s28, s24, s25
	s_and_saveexec_b32 s29, s6
	s_cbranch_execz .LBB1_46
; %bb.43:                               ;   in Loop: Header=BB1_20 Depth=1
	v_mov_b64_e32 v[10:11], v[0:1]
	v_dual_mov_b32 v2, v17 :: v_dual_mov_b32 v12, v4
	s_add_co_i32 s30, s28, 0x100
	s_add_co_i32 s31, s28, 0x200
	;; [unrolled: 1-line block ×3, first 2 shown]
	s_mov_b32 s33, s30
	s_mov_b32 s34, s31
	;; [unrolled: 1-line block ×5, first 2 shown]
.LBB1_44:                               ;   Parent Loop BB1_20 Depth=1
                                        ; =>  This Inner Loop Header: Depth=2
	v_dual_add_nc_u32 v13, s28, v10 :: v_dual_add_nc_u32 v21, s28, v11
	v_dual_add_nc_u32 v26, s33, v11 :: v_dual_add_nc_u32 v27, s30, v10
	s_add_co_i32 s38, s38, 8
	s_clause 0x1
	global_load_b32 v22, v13, s[16:17] scale_offset
	global_load_b32 v23, v21, s[16:17] scale_offset
	ds_load_2addr_stride64_b32 v[24:25], v12 offset1:2
	v_add_nc_u32_e32 v2, -4, v2
	s_wait_loadcnt_dscnt 0x0
	v_pk_fma_f32 v[22:23], v[8:9], v[24:25], v[22:23]
	s_clause 0x3
	global_store_b32 v13, v22, s[16:17] scale_offset
	global_store_b32 v21, v23, s[16:17] scale_offset
	global_load_b32 v22, v27, s[16:17] scale_offset
	global_load_b32 v23, v26, s[16:17] scale_offset
	ds_load_2addr_stride64_b32 v[24:25], v12 offset0:4 offset1:6
	v_dual_add_nc_u32 v13, s34, v11 :: v_dual_add_nc_u32 v21, s31, v10
	s_wait_loadcnt_dscnt 0x0
	v_pk_fma_f32 v[22:23], v[8:9], v[24:25], v[22:23]
	s_clause 0x3
	global_store_b32 v27, v22, s[16:17] scale_offset
	global_store_b32 v26, v23, s[16:17] scale_offset
	global_load_b32 v22, v21, s[16:17] scale_offset
	global_load_b32 v23, v13, s[16:17] scale_offset
	ds_load_2addr_stride64_b32 v[24:25], v12 offset0:8 offset1:10
	v_dual_add_nc_u32 v26, s35, v10 :: v_dual_add_nc_u32 v27, s37, v11
	v_add_nc_u32_e32 v11, 0x400, v11
	v_add_nc_u32_e32 v10, 0x400, v10
	s_wait_loadcnt_dscnt 0x0
	v_pk_fma_f32 v[22:23], v[8:9], v[24:25], v[22:23]
	s_clause 0x3
	global_store_b32 v21, v22, s[16:17] scale_offset
	global_store_b32 v13, v23, s[16:17] scale_offset
	global_load_b32 v22, v26, s[16:17] scale_offset
	global_load_b32 v23, v27, s[16:17] scale_offset
	ds_load_2addr_stride64_b32 v[24:25], v12 offset0:12 offset1:14
	v_mov_b32_e32 v13, s38
	v_cmp_eq_u32_e32 vcc_lo, 0, v2
	v_add_nc_u32_e32 v12, 0x1000, v12
	s_or_b32 s36, vcc_lo, s36
	s_wait_loadcnt_dscnt 0x0
	v_pk_fma_f32 v[22:23], v[8:9], v[24:25], v[22:23]
	s_clause 0x1
	global_store_b32 v26, v22, s[16:17] scale_offset
	global_store_b32 v27, v23, s[16:17] scale_offset
	s_wait_xcnt 0x0
	s_and_not1_b32 exec_lo, exec_lo, s36
	s_cbranch_execnz .LBB1_44
; %bb.45:                               ;   in Loop: Header=BB1_20 Depth=1
	s_or_b32 exec_lo, exec_lo, s36
.LBB1_46:                               ;   in Loop: Header=BB1_20 Depth=1
	s_delay_alu instid0(SALU_CYCLE_1)
	s_or_b32 exec_lo, exec_lo, s29
	s_and_saveexec_b32 s29, s7
	s_cbranch_execz .LBB1_49
; %bb.47:                               ;   in Loop: Header=BB1_20 Depth=1
	v_lshl_or_b32 v2, v13, 9, v4
	v_mov_b32_e32 v12, v16
	s_mov_b32 s30, 0
.LBB1_48:                               ;   Parent Loop BB1_20 Depth=1
                                        ; =>  This Inner Loop Header: Depth=2
	v_dual_add_nc_u32 v13, s28, v10 :: v_dual_add_nc_u32 v21, s28, v11
	s_delay_alu instid0(VALU_DEP_2)
	v_add_nc_u32_e32 v12, -1, v12
	v_add_nc_u32_e32 v11, 0x100, v11
	v_add_nc_u32_e32 v10, 0x100, v10
	s_clause 0x1
	global_load_b32 v22, v13, s[16:17] scale_offset
	global_load_b32 v23, v21, s[16:17] scale_offset
	ds_load_2addr_stride64_b32 v[24:25], v2 offset1:2
	v_cmp_eq_u32_e32 vcc_lo, 0, v12
	v_add_nc_u32_e32 v2, 0x400, v2
	s_or_b32 s30, vcc_lo, s30
	s_wait_loadcnt_dscnt 0x0
	v_pk_fma_f32 v[22:23], v[8:9], v[24:25], v[22:23]
	s_clause 0x1
	global_store_b32 v13, v22, s[16:17] scale_offset
	global_store_b32 v21, v23, s[16:17] scale_offset
	s_wait_xcnt 0x0
	s_and_not1_b32 exec_lo, exec_lo, s30
	s_cbranch_execnz .LBB1_48
.LBB1_49:                               ;   in Loop: Header=BB1_20 Depth=1
	s_or_b32 exec_lo, exec_lo, s29
	s_mov_b32 s28, 0
                                        ; implicit-def: $vgpr2
	s_and_saveexec_b32 s29, s8
; %bb.50:                               ;   in Loop: Header=BB1_20 Depth=1
	v_lshlrev_b32_e32 v2, 2, v15
	s_mov_b32 s28, exec_lo
; %bb.51:                               ;   in Loop: Header=BB1_20 Depth=1
	s_or_b32 exec_lo, exec_lo, s29
	v_mov_b32_e32 v10, v15
	s_or_not1_b32 s28, s28, exec_lo
.LBB1_52:                               ;   in Loop: Header=BB1_20 Depth=1
	s_or_b32 exec_lo, exec_lo, s27
	s_delay_alu instid0(SALU_CYCLE_1)
	s_and_b32 exec_lo, exec_lo, s28
	s_cbranch_execz .LBB1_19
; %bb.53:                               ;   in Loop: Header=BB1_20 Depth=1
	v_ashrrev_i32_e32 v11, 31, v10
	s_add_nc_u64 s[22:23], s[10:11], s[22:23]
	s_delay_alu instid0(VALU_DEP_1) | instid1(SALU_CYCLE_1)
	v_lshl_add_u64 v[12:13], v[10:11], 2, s[22:23]
	s_mov_b32 s22, 0
.LBB1_54:                               ;   Parent Loop BB1_20 Depth=1
                                        ; =>  This Inner Loop Header: Depth=2
	global_load_b32 v9, v[12:13], off
	ds_load_b32 v11, v2
	v_add_nc_u32_e32 v10, 0x80, v10
	s_wait_loadcnt_dscnt 0x0
	v_dual_fmac_f32 v9, v8, v11 :: v_dual_add_nc_u32 v2, 0x200, v2
	s_delay_alu instid0(VALU_DEP_2) | instskip(SKIP_4) | instid1(SALU_CYCLE_1)
	v_cmp_le_i32_e32 vcc_lo, s12, v10
	global_store_b32 v[12:13], v9, off
	s_wait_xcnt 0x0
	v_add_nc_u64_e32 v[12:13], 0x200, v[12:13]
	s_or_b32 s22, vcc_lo, s22
	s_and_not1_b32 exec_lo, exec_lo, s22
	s_cbranch_execnz .LBB1_54
	s_branch .LBB1_19
.LBB1_55:
	s_endpgm
	.section	.rodata,"a",@progbits
	.p2align	6, 0x0
	.amdhsa_kernel _ZN9rocsolver6v33100L22larf_left_kernel_smallILi128EfiPfEEvT1_S3_T2_lS3_lPKT0_lS4_lS3_l
		.amdhsa_group_segment_fixed_size 8704
		.amdhsa_private_segment_fixed_size 0
		.amdhsa_kernarg_size 88
		.amdhsa_user_sgpr_count 2
		.amdhsa_user_sgpr_dispatch_ptr 0
		.amdhsa_user_sgpr_queue_ptr 0
		.amdhsa_user_sgpr_kernarg_segment_ptr 1
		.amdhsa_user_sgpr_dispatch_id 0
		.amdhsa_user_sgpr_kernarg_preload_length 0
		.amdhsa_user_sgpr_kernarg_preload_offset 0
		.amdhsa_user_sgpr_private_segment_size 0
		.amdhsa_wavefront_size32 1
		.amdhsa_uses_dynamic_stack 0
		.amdhsa_enable_private_segment 0
		.amdhsa_system_sgpr_workgroup_id_x 1
		.amdhsa_system_sgpr_workgroup_id_y 1
		.amdhsa_system_sgpr_workgroup_id_z 0
		.amdhsa_system_sgpr_workgroup_info 0
		.amdhsa_system_vgpr_workitem_id 0
		.amdhsa_next_free_vgpr 33
		.amdhsa_next_free_sgpr 39
		.amdhsa_named_barrier_count 0
		.amdhsa_reserve_vcc 1
		.amdhsa_float_round_mode_32 0
		.amdhsa_float_round_mode_16_64 0
		.amdhsa_float_denorm_mode_32 3
		.amdhsa_float_denorm_mode_16_64 3
		.amdhsa_fp16_overflow 0
		.amdhsa_memory_ordered 1
		.amdhsa_forward_progress 1
		.amdhsa_inst_pref_size 26
		.amdhsa_round_robin_scheduling 0
		.amdhsa_exception_fp_ieee_invalid_op 0
		.amdhsa_exception_fp_denorm_src 0
		.amdhsa_exception_fp_ieee_div_zero 0
		.amdhsa_exception_fp_ieee_overflow 0
		.amdhsa_exception_fp_ieee_underflow 0
		.amdhsa_exception_fp_ieee_inexact 0
		.amdhsa_exception_int_div_zero 0
	.end_amdhsa_kernel
	.section	.text._ZN9rocsolver6v33100L22larf_left_kernel_smallILi128EfiPfEEvT1_S3_T2_lS3_lPKT0_lS4_lS3_l,"axG",@progbits,_ZN9rocsolver6v33100L22larf_left_kernel_smallILi128EfiPfEEvT1_S3_T2_lS3_lPKT0_lS4_lS3_l,comdat
.Lfunc_end1:
	.size	_ZN9rocsolver6v33100L22larf_left_kernel_smallILi128EfiPfEEvT1_S3_T2_lS3_lPKT0_lS4_lS3_l, .Lfunc_end1-_ZN9rocsolver6v33100L22larf_left_kernel_smallILi128EfiPfEEvT1_S3_T2_lS3_lPKT0_lS4_lS3_l
                                        ; -- End function
	.set _ZN9rocsolver6v33100L22larf_left_kernel_smallILi128EfiPfEEvT1_S3_T2_lS3_lPKT0_lS4_lS3_l.num_vgpr, 33
	.set _ZN9rocsolver6v33100L22larf_left_kernel_smallILi128EfiPfEEvT1_S3_T2_lS3_lPKT0_lS4_lS3_l.num_agpr, 0
	.set _ZN9rocsolver6v33100L22larf_left_kernel_smallILi128EfiPfEEvT1_S3_T2_lS3_lPKT0_lS4_lS3_l.numbered_sgpr, 39
	.set _ZN9rocsolver6v33100L22larf_left_kernel_smallILi128EfiPfEEvT1_S3_T2_lS3_lPKT0_lS4_lS3_l.num_named_barrier, 0
	.set _ZN9rocsolver6v33100L22larf_left_kernel_smallILi128EfiPfEEvT1_S3_T2_lS3_lPKT0_lS4_lS3_l.private_seg_size, 0
	.set _ZN9rocsolver6v33100L22larf_left_kernel_smallILi128EfiPfEEvT1_S3_T2_lS3_lPKT0_lS4_lS3_l.uses_vcc, 1
	.set _ZN9rocsolver6v33100L22larf_left_kernel_smallILi128EfiPfEEvT1_S3_T2_lS3_lPKT0_lS4_lS3_l.uses_flat_scratch, 0
	.set _ZN9rocsolver6v33100L22larf_left_kernel_smallILi128EfiPfEEvT1_S3_T2_lS3_lPKT0_lS4_lS3_l.has_dyn_sized_stack, 0
	.set _ZN9rocsolver6v33100L22larf_left_kernel_smallILi128EfiPfEEvT1_S3_T2_lS3_lPKT0_lS4_lS3_l.has_recursion, 0
	.set _ZN9rocsolver6v33100L22larf_left_kernel_smallILi128EfiPfEEvT1_S3_T2_lS3_lPKT0_lS4_lS3_l.has_indirect_call, 0
	.section	.AMDGPU.csdata,"",@progbits
; Kernel info:
; codeLenInByte = 3212
; TotalNumSgprs: 41
; NumVgprs: 33
; ScratchSize: 0
; MemoryBound: 0
; FloatMode: 240
; IeeeMode: 1
; LDSByteSize: 8704 bytes/workgroup (compile time only)
; SGPRBlocks: 0
; VGPRBlocks: 2
; NumSGPRsForWavesPerEU: 41
; NumVGPRsForWavesPerEU: 33
; NamedBarCnt: 0
; Occupancy: 16
; WaveLimiterHint : 1
; COMPUTE_PGM_RSRC2:SCRATCH_EN: 0
; COMPUTE_PGM_RSRC2:USER_SGPR: 2
; COMPUTE_PGM_RSRC2:TRAP_HANDLER: 0
; COMPUTE_PGM_RSRC2:TGID_X_EN: 1
; COMPUTE_PGM_RSRC2:TGID_Y_EN: 1
; COMPUTE_PGM_RSRC2:TGID_Z_EN: 0
; COMPUTE_PGM_RSRC2:TIDIG_COMP_CNT: 0
	.section	.text._ZN9rocsolver6v33100L22larf_left_kernel_smallILi256EfiPfEEvT1_S3_T2_lS3_lPKT0_lS4_lS3_l,"axG",@progbits,_ZN9rocsolver6v33100L22larf_left_kernel_smallILi256EfiPfEEvT1_S3_T2_lS3_lPKT0_lS4_lS3_l,comdat
	.globl	_ZN9rocsolver6v33100L22larf_left_kernel_smallILi256EfiPfEEvT1_S3_T2_lS3_lPKT0_lS4_lS3_l ; -- Begin function _ZN9rocsolver6v33100L22larf_left_kernel_smallILi256EfiPfEEvT1_S3_T2_lS3_lPKT0_lS4_lS3_l
	.p2align	8
	.type	_ZN9rocsolver6v33100L22larf_left_kernel_smallILi256EfiPfEEvT1_S3_T2_lS3_lPKT0_lS4_lS3_l,@function
_ZN9rocsolver6v33100L22larf_left_kernel_smallILi256EfiPfEEvT1_S3_T2_lS3_lPKT0_lS4_lS3_l: ; @_ZN9rocsolver6v33100L22larf_left_kernel_smallILi256EfiPfEEvT1_S3_T2_lS3_lPKT0_lS4_lS3_l
; %bb.0:
	s_clause 0x2
	s_load_b64 s[12:13], s[0:1], 0x0
	s_load_b256 s[4:11], s[0:1], 0x20
	s_load_b64 s[14:15], s[0:1], 0x40
	s_bfe_u32 s2, ttmp6, 0x4000c
	s_and_b32 s3, ttmp6, 15
	s_add_co_i32 s2, s2, 1
	s_getreg_b32 s18, hwreg(HW_REG_IB_STS2, 6, 4)
	s_mul_i32 s2, ttmp9, s2
	s_delay_alu instid0(SALU_CYCLE_1)
	s_add_co_i32 s3, s3, s2
	s_cmp_eq_u32 s18, 0
	s_cselect_b32 s16, ttmp9, s3
	s_mov_b32 s3, 0
	s_ashr_i32 s17, s16, 31
	s_wait_kmcnt 0x0
	v_cmp_gt_i32_e64 s2, s12, v0
	v_xad_u32 v4, v0, -1, s12
	s_and_saveexec_b32 s19, s2
	s_cbranch_execz .LBB2_17
; %bb.1:
	s_clause 0x1
	s_load_b128 s[24:27], s[0:1], 0x8
	s_load_b32 s20, s[0:1], 0x18
	s_mul_u64 s[4:5], s[4:5], s[16:17]
	s_sub_co_i32 s21, 1, s12
	s_lshl_b64 s[4:5], s[4:5], 2
                                        ; implicit-def: $vgpr1
                                        ; implicit-def: $vgpr2
	s_wait_kmcnt 0x0
	s_lshl_b64 s[22:23], s[26:27], 2
	s_add_nc_u64 s[4:5], s[24:25], s[4:5]
	s_mul_i32 s21, s20, s21
	s_cmp_lt_i32 s20, 1
	s_add_nc_u64 s[4:5], s[4:5], s[22:23]
	s_cselect_b32 s21, s21, 0
	s_mov_b32 s24, -1
	s_mov_b32 s22, exec_lo
	v_cmpx_lt_u32_e32 0x18ff, v4
	s_xor_b32 s22, exec_lo, s22
	s_cbranch_execnz .LBB2_4
; %bb.2:
	s_and_not1_saveexec_b32 s22, s22
	s_cbranch_execnz .LBB2_14
.LBB2_3:
	s_or_b32 exec_lo, exec_lo, s22
	s_delay_alu instid0(SALU_CYCLE_1)
	s_and_b32 exec_lo, exec_lo, s3
	s_cbranch_execnz .LBB2_15
	s_branch .LBB2_17
.LBB2_4:
	s_lshl_b32 s23, s20, 8
	v_mad_u32 v1, v0, s20, s21
	s_sub_co_i32 s3, 0, s23
	s_cmp_lt_i32 s23, 0
	v_lshrrev_b32_e32 v5, 8, v4
	s_cselect_b32 vcc_lo, -1, 0
	s_delay_alu instid0(SALU_CYCLE_1)
	s_and_b32 s25, vcc_lo, exec_lo
	s_cselect_b32 s25, s3, s23
	s_delay_alu instid0(VALU_DEP_1) | instid1(SALU_CYCLE_1)
	v_mul_lo_u32 v2, s25, v5
	s_delay_alu instid0(VALU_DEP_1) | instskip(NEXT) | instid1(VALU_DEP_1)
	v_sub_nc_u32_e32 v3, v1, v2
	v_cmp_gt_i32_e64 s3, v3, v1
	s_delay_alu instid0(VALU_DEP_1) | instskip(SKIP_1) | instid1(VALU_DEP_1)
	v_cndmask_b32_e64 v3, 0, 1, s3
	v_add_nc_u32_e32 v2, v1, v2
	v_cmp_lt_i32_e64 s3, v2, v1
	v_mul_hi_u32 v2, s25, v5
	s_delay_alu instid0(VALU_DEP_2) | instskip(NEXT) | instid1(VALU_DEP_1)
	v_cndmask_b32_e64 v1, 0, 1, s3
	v_cndmask_b32_e32 v1, v1, v3, vcc_lo
	s_delay_alu instid0(VALU_DEP_3) | instskip(NEXT) | instid1(VALU_DEP_2)
	v_cmp_eq_u32_e64 s3, 0, v2
	v_and_b32_e32 v1, 1, v1
	s_delay_alu instid0(VALU_DEP_1) | instskip(SKIP_2) | instid1(SALU_CYCLE_1)
	v_cmp_eq_u32_e32 vcc_lo, 1, v1
	v_mov_b32_e32 v1, v0
	s_xor_b32 s25, vcc_lo, -1
	s_and_b32 s25, s25, s3
	s_delay_alu instid0(SALU_CYCLE_1)
	s_and_saveexec_b32 s3, s25
	s_cbranch_execz .LBB2_13
; %bb.5:
	v_dual_mov_b32 v9, 0 :: v_dual_add_nc_u32 v2, -1, v5
	v_or_b32_e32 v1, 0x100, v0
	s_delay_alu instid0(VALU_DEP_2) | instskip(SKIP_1) | instid1(VALU_DEP_2)
	v_lshrrev_b32_e32 v3, 1, v2
	v_cmp_lt_u32_e32 vcc_lo, 5, v2
	v_add_nc_u32_e32 v6, 1, v3
	s_delay_alu instid0(VALU_DEP_4)
	v_mov_b64_e32 v[2:3], v[0:1]
	s_and_saveexec_b32 s24, vcc_lo
	s_cbranch_execz .LBB2_9
; %bb.6:
	v_mov_b64_e32 v[2:3], v[0:1]
	v_dual_lshlrev_b32 v8, 2, v0 :: v_dual_bitop2_b32 v7, -4, v6 bitop3:0x40
	s_mov_b32 s25, 0
	s_mov_b32 s26, 0
.LBB2_7:                                ; =>This Inner Loop Header: Depth=1
	s_delay_alu instid0(VALU_DEP_2)
	v_add_nc_u32_e32 v11, 0x600, v3
	v_add_nc_u32_e32 v12, 0x400, v3
	;; [unrolled: 1-line block ×3, first 2 shown]
	v_mad_u32 v9, v2, s20, s21
	s_add_co_i32 s26, s26, 8
	v_add_nc_u32_e32 v10, 0x200, v2
	v_add_nc_u32_e32 v14, 0x400, v2
	v_mad_u32 v11, v11, s20, s21
	v_add_nc_u32_e32 v15, 0x600, v2
	v_mad_u32 v12, v12, s20, s21
	v_mad_u32 v13, v13, s20, s21
	;; [unrolled: 1-line block ×6, first 2 shown]
	s_clause 0x7
	global_load_b32 v16, v9, s[4:5] scale_offset
	global_load_b32 v17, v11, s[4:5] scale_offset
	;; [unrolled: 1-line block ×8, first 2 shown]
	v_add_nc_u32_e32 v7, -4, v7
	v_add_nc_u32_e32 v3, 0x800, v3
	s_wait_xcnt 0x7
	v_dual_mov_b32 v9, s26 :: v_dual_add_nc_u32 v2, 0x800, v2
	s_wait_loadcnt 0x3
	ds_store_2addr_stride64_b32 v8, v16, v20 offset1:4
	s_wait_loadcnt 0x2
	ds_store_2addr_stride64_b32 v8, v21, v19 offset0:8 offset1:12
	s_wait_loadcnt 0x1
	ds_store_2addr_stride64_b32 v8, v22, v18 offset0:16 offset1:20
	;; [unrolled: 2-line block ×3, first 2 shown]
	v_cmp_eq_u32_e32 vcc_lo, 0, v7
	v_add_nc_u32_e32 v8, 0x2000, v8
	s_or_b32 s25, vcc_lo, s25
	s_wait_xcnt 0x0
	s_and_not1_b32 exec_lo, exec_lo, s25
	s_cbranch_execnz .LBB2_7
; %bb.8:
	s_or_b32 exec_lo, exec_lo, s25
.LBB2_9:
	s_delay_alu instid0(SALU_CYCLE_1) | instskip(SKIP_3) | instid1(VALU_DEP_1)
	s_or_b32 exec_lo, exec_lo, s24
	v_and_b32_e32 v1, 3, v6
	s_mov_b32 s25, 0
	s_mov_b32 s24, exec_lo
	v_cmpx_ne_u32_e32 0, v1
	s_cbranch_execz .LBB2_12
; %bb.10:
	v_lshlrev_b32_e32 v6, 2, v0
	s_delay_alu instid0(VALU_DEP_1)
	v_lshl_or_b32 v6, v9, 10, v6
.LBB2_11:                               ; =>This Inner Loop Header: Depth=1
	v_mad_u32 v7, v2, s20, s21
	v_mad_u32 v8, v3, s20, s21
	v_add_nc_u32_e32 v1, -1, v1
	v_add_nc_u32_e32 v3, 0x200, v3
	v_add_nc_u32_e32 v2, 0x200, v2
	s_clause 0x1
	global_load_b32 v9, v7, s[4:5] scale_offset
	global_load_b32 v10, v8, s[4:5] scale_offset
	v_cmp_eq_u32_e32 vcc_lo, 0, v1
	s_or_b32 s25, vcc_lo, s25
	s_wait_loadcnt 0x0
	ds_store_2addr_stride64_b32 v6, v9, v10 offset1:4
	v_add_nc_u32_e32 v6, 0x800, v6
	s_and_not1_b32 exec_lo, exec_lo, s25
	s_cbranch_execnz .LBB2_11
.LBB2_12:
	s_or_b32 exec_lo, exec_lo, s24
	v_add_nc_u32_e32 v1, 1, v5
	s_delay_alu instid0(VALU_DEP_1) | instskip(NEXT) | instid1(VALU_DEP_1)
	v_and_b32_e32 v2, 0x1fffffe, v1
	v_cmp_ne_u32_e32 vcc_lo, v1, v2
	v_lshl_or_b32 v1, v2, 8, v0
	s_or_not1_b32 s24, vcc_lo, exec_lo
.LBB2_13:
	s_or_b32 exec_lo, exec_lo, s3
	v_mov_b32_e32 v2, s23
	s_and_b32 s3, s24, exec_lo
	s_and_not1_saveexec_b32 s22, s22
	s_cbranch_execz .LBB2_3
.LBB2_14:
	s_lshl_b32 s23, s20, 8
	s_or_b32 s3, s3, exec_lo
	v_dual_mov_b32 v2, s23 :: v_dual_mov_b32 v1, v0
	s_or_b32 exec_lo, exec_lo, s22
	s_delay_alu instid0(SALU_CYCLE_1)
	s_and_b32 exec_lo, exec_lo, s3
	s_cbranch_execz .LBB2_17
.LBB2_15:
	s_delay_alu instid0(VALU_DEP_1)
	v_mad_u32 v3, v1, s20, s21
	v_lshlrev_b32_e32 v5, 2, v1
	s_mov_b32 s3, 0
.LBB2_16:                               ; =>This Inner Loop Header: Depth=1
	global_load_b32 v6, v3, s[4:5] scale_offset
	v_add_nc_u32_e32 v1, 0x100, v1
	s_wait_xcnt 0x0
	v_add_nc_u32_e32 v3, v3, v2
	s_delay_alu instid0(VALU_DEP_2)
	v_cmp_le_i32_e32 vcc_lo, s12, v1
	s_or_b32 s3, vcc_lo, s3
	s_wait_loadcnt 0x0
	ds_store_b32 v5, v6
	v_add_nc_u32_e32 v5, 0x400, v5
	s_and_not1_b32 exec_lo, exec_lo, s3
	s_cbranch_execnz .LBB2_16
.LBB2_17:
	s_or_b32 exec_lo, exec_lo, s19
	s_bfe_u32 s3, ttmp6, 0x40010
	s_bfe_u32 s4, ttmp6, 0x40004
	s_add_co_i32 s3, s3, 1
	s_wait_dscnt 0x0
	s_mul_i32 s3, ttmp7, s3
	s_barrier_signal -1
	s_add_co_i32 s4, s4, s3
	s_cmp_eq_u32 s18, 0
	s_barrier_wait -1
	s_cselect_b32 s24, ttmp7, s4
	s_delay_alu instid0(SALU_CYCLE_1)
	s_cmp_ge_i32 s24, s13
	s_cbranch_scc1 .LBB2_55
; %bb.18:
	v_lshrrev_b32_e32 v1, 8, v4
	s_clause 0x1
	s_load_b64 s[18:19], s[0:1], 0x50
	s_load_b32 s25, s[0:1], 0x48
	v_dual_lshrrev_b32 v14, 3, v0 :: v_dual_bitop2_b32 v2, 31, v0 bitop3:0x40
	s_mul_u64 s[4:5], s[8:9], s[16:17]
	v_add_nc_u32_e32 v6, 1, v1
	s_lshl_b64 s[4:5], s[4:5], 2
	s_lshl_b64 s[20:21], s[14:15], 2
	s_add_nc_u64 s[14:15], s[6:7], s[4:5]
	v_cmp_eq_u32_e64 s4, 0, v2
	v_dual_add_nc_u32 v5, -1, v1 :: v_dual_bitop2_b32 v8, 7, v6 bitop3:0x40
	s_wait_xcnt 0x0
	v_cmp_lt_u32_e64 s1, 0x6ff, v4
	v_cmp_lt_u32_e64 s3, 0xff, v4
	v_mbcnt_lo_u32_b32 v18, -1, 0
	v_dual_mov_b32 v3, 0 :: v_dual_lshrrev_b32 v1, 1, v5
	v_cmp_eq_u32_e64 s0, 0, v0
	v_cmp_ne_u32_e64 s5, 0, v8
	s_delay_alu instid0(VALU_DEP_4)
	v_lshl_or_b32 v19, v18, 2, 64
	s_wait_kmcnt 0x0
	s_mul_u64 s[6:7], s[18:19], s[16:17]
	v_add_nc_u32_e32 v2, 1, v1
	s_lshl_b64 s[18:19], s[6:7], 2
	v_or_b32_e32 v1, 0x100, v0
	s_add_nc_u64 s[6:7], s[10:11], s[18:19]
	s_delay_alu instid0(VALU_DEP_2)
	v_dual_lshlrev_b32 v4, 2, v0 :: v_dual_bitop2_b32 v17, -4, v2 bitop3:0x40
	v_and_b32_e32 v16, 3, v2
	v_and_b32_e32 v7, 0x1fffffe, v6
	s_add_nc_u64 s[16:17], s[6:7], s[20:21]
	v_cmp_lt_u32_e64 s6, 5, v5
	v_dual_mov_b32 v5, v3 :: v_dual_mov_b32 v20, 0x2004
	s_add_nc_u64 s[18:19], s[18:19], s[20:21]
	v_lshl_or_b32 v15, v7, 8, v0
	s_add_nc_u64 s[10:11], s[10:11], s[18:19]
	v_cmp_ne_u32_e64 s8, v6, v7
	v_add_nc_u64_e32 v[6:7], s[10:11], v[4:5]
	v_cmp_ne_u32_e64 s7, 0, v16
	v_dual_mov_b32 v22, 0x2014 :: v_dual_lshlrev_b32 v5, 2, v8
	v_mov_b32_e32 v21, 0x200c
	v_lshlrev_b32_e32 v23, 2, v15
	s_cmp_gt_i32 s12, 1
	s_mul_i32 s18, s24, s25
	s_cselect_b32 s9, -1, 0
	s_lshl_b32 s26, s25, 6
	s_add_nc_u64 s[20:21], s[10:11], 0x1c00
	s_branch .LBB2_20
.LBB2_19:                               ;   in Loop: Header=BB2_20 Depth=1
	s_or_b32 exec_lo, exec_lo, s19
	s_add_co_i32 s24, s24, 64
	s_add_co_i32 s18, s18, s26
	s_cmp_ge_i32 s24, s13
	s_cbranch_scc1 .LBB2_55
.LBB2_20:                               ; =>This Loop Header: Depth=1
                                        ;     Child Loop BB2_23 Depth 2
                                        ;     Child Loop BB2_27 Depth 2
                                        ;     Child Loop BB2_44 Depth 2
                                        ;     Child Loop BB2_48 Depth 2
                                        ;     Child Loop BB2_54 Depth 2
	v_mov_b32_e32 v10, 0
	s_ashr_i32 s19, s18, 31
	s_delay_alu instid0(SALU_CYCLE_1)
	s_lshl_b64 s[22:23], s[18:19], 2
	s_and_saveexec_b32 s19, s2
	s_cbranch_execz .LBB2_30
; %bb.21:                               ;   in Loop: Header=BB2_20 Depth=1
	v_dual_mov_b32 v10, 0 :: v_dual_mov_b32 v2, v0
	s_and_saveexec_b32 s27, s5
	s_cbranch_execz .LBB2_25
; %bb.22:                               ;   in Loop: Header=BB2_20 Depth=1
	v_add_nc_u64_e32 v[8:9], s[22:23], v[6:7]
	v_dual_mov_b32 v10, 0 :: v_dual_mov_b32 v11, v5
	v_dual_mov_b32 v12, v4 :: v_dual_mov_b32 v2, v0
	s_mov_b32 s28, 0
.LBB2_23:                               ;   Parent Loop BB2_20 Depth=1
                                        ; =>  This Inner Loop Header: Depth=2
	global_load_b32 v13, v[8:9], off
	ds_load_b32 v24, v12
	v_add_nc_u32_e32 v11, -4, v11
	s_wait_xcnt 0x0
	v_add_nc_u64_e32 v[8:9], 0x400, v[8:9]
	v_add_nc_u32_e32 v2, 0x100, v2
	v_add_nc_u32_e32 v12, 0x400, v12
	s_wait_loadcnt_dscnt 0x0
	v_fmac_f32_e32 v10, v24, v13
	v_cmp_eq_u32_e32 vcc_lo, 0, v11
	s_or_b32 s28, vcc_lo, s28
	s_delay_alu instid0(SALU_CYCLE_1)
	s_and_not1_b32 exec_lo, exec_lo, s28
	s_cbranch_execnz .LBB2_23
; %bb.24:                               ;   in Loop: Header=BB2_20 Depth=1
	s_or_b32 exec_lo, exec_lo, s28
.LBB2_25:                               ;   in Loop: Header=BB2_20 Depth=1
	s_delay_alu instid0(SALU_CYCLE_1)
	s_or_b32 exec_lo, exec_lo, s27
	s_and_saveexec_b32 s27, s1
	s_cbranch_execz .LBB2_29
; %bb.26:                               ;   in Loop: Header=BB2_20 Depth=1
	s_add_nc_u64 s[28:29], s[20:21], s[22:23]
	v_lshlrev_b32_e32 v11, 2, v2
	v_lshl_add_u64 v[8:9], v[2:3], 2, s[28:29]
	s_mov_b32 s28, 0
.LBB2_27:                               ;   Parent Loop BB2_20 Depth=1
                                        ; =>  This Inner Loop Header: Depth=2
	s_clause 0x7
	global_load_b32 v28, v[8:9], off offset:-7168
	global_load_b32 v29, v[8:9], off offset:-6144
	;; [unrolled: 1-line block ×7, first 2 shown]
	global_load_b32 v35, v[8:9], off
	ds_load_2addr_stride64_b32 v[12:13], v11 offset1:4
	ds_load_2addr_stride64_b32 v[24:25], v11 offset0:8 offset1:12
	ds_load_2addr_stride64_b32 v[26:27], v11 offset0:16 offset1:20
	v_add_nc_u32_e32 v2, 0x800, v2
	s_wait_xcnt 0x0
	v_add_nc_u64_e32 v[8:9], 0x2000, v[8:9]
	s_delay_alu instid0(VALU_DEP_2) | instskip(SKIP_4) | instid1(VALU_DEP_1)
	v_cmp_le_i32_e32 vcc_lo, s12, v2
	s_or_b32 s28, vcc_lo, s28
	s_wait_loadcnt_dscnt 0x702
	v_fmac_f32_e32 v10, v12, v28
	s_wait_loadcnt 0x6
	v_fmac_f32_e32 v10, v13, v29
	ds_load_2addr_stride64_b32 v[12:13], v11 offset0:24 offset1:28
	s_wait_loadcnt_dscnt 0x502
	v_dual_fmac_f32 v10, v24, v30 :: v_dual_add_nc_u32 v11, 0x2000, v11
	s_wait_loadcnt 0x4
	s_delay_alu instid0(VALU_DEP_1) | instskip(SKIP_1) | instid1(VALU_DEP_1)
	v_fmac_f32_e32 v10, v25, v31
	s_wait_loadcnt_dscnt 0x301
	v_fmac_f32_e32 v10, v26, v32
	s_wait_loadcnt 0x2
	s_delay_alu instid0(VALU_DEP_1) | instskip(SKIP_1) | instid1(VALU_DEP_1)
	v_fmac_f32_e32 v10, v27, v33
	s_wait_loadcnt_dscnt 0x100
	v_fmac_f32_e32 v10, v12, v34
	s_wait_loadcnt 0x0
	s_delay_alu instid0(VALU_DEP_1)
	v_fmac_f32_e32 v10, v13, v35
	s_and_not1_b32 exec_lo, exec_lo, s28
	s_cbranch_execnz .LBB2_27
; %bb.28:                               ;   in Loop: Header=BB2_20 Depth=1
	s_or_b32 exec_lo, exec_lo, s28
.LBB2_29:                               ;   in Loop: Header=BB2_20 Depth=1
	s_delay_alu instid0(SALU_CYCLE_1)
	s_or_b32 exec_lo, exec_lo, s27
.LBB2_30:                               ;   in Loop: Header=BB2_20 Depth=1
	s_delay_alu instid0(SALU_CYCLE_1) | instskip(NEXT) | instid1(SALU_CYCLE_1)
	s_or_b32 exec_lo, exec_lo, s19
	s_and_b32 vcc_lo, exec_lo, s9
	s_cbranch_vccz .LBB2_37
; %bb.31:                               ;   in Loop: Header=BB2_20 Depth=1
	v_cmp_ne_u32_e32 vcc_lo, 31, v18
	v_add_co_ci_u32_e64 v2, null, 0, v18, vcc_lo
	v_cmp_gt_u32_e32 vcc_lo, 30, v18
	s_delay_alu instid0(VALU_DEP_2)
	v_lshlrev_b32_e32 v2, 2, v2
	v_cndmask_b32_e64 v8, 0, 2, vcc_lo
	v_cmp_gt_u32_e32 vcc_lo, 28, v18
	ds_bpermute_b32 v2, v2, v10
	v_add_lshl_u32 v8, v8, v18, 2
	v_cndmask_b32_e64 v9, 0, 4, vcc_lo
	v_cmp_gt_u32_e32 vcc_lo, 24, v18
	s_delay_alu instid0(VALU_DEP_2)
	v_add_lshl_u32 v9, v9, v18, 2
	s_wait_dscnt 0x0
	v_add_f32_e32 v2, v10, v2
	ds_bpermute_b32 v8, v8, v2
	s_wait_dscnt 0x0
	v_add_f32_e32 v2, v2, v8
	ds_bpermute_b32 v8, v9, v2
	v_cndmask_b32_e64 v9, 0, 8, vcc_lo
	s_wait_dscnt 0x0
	v_add_f32_e32 v2, v2, v8
	s_delay_alu instid0(VALU_DEP_2)
	v_add_lshl_u32 v8, v9, v18, 2
	ds_bpermute_b32 v8, v8, v2
	s_wait_dscnt 0x0
	v_add_f32_e32 v2, v2, v8
	ds_bpermute_b32 v8, v19, v2
	s_wait_dscnt 0x0
	v_add_f32_e32 v2, v2, v8
	s_and_saveexec_b32 s19, s4
; %bb.32:                               ;   in Loop: Header=BB2_20 Depth=1
	ds_store_b32 v14, v2 offset:8192
; %bb.33:                               ;   in Loop: Header=BB2_20 Depth=1
	s_or_b32 exec_lo, exec_lo, s19
	s_mov_b32 s27, 0
	s_mov_b32 s19, 0
	s_wait_dscnt 0x0
	s_barrier_signal -1
	s_barrier_wait -1
                                        ; implicit-def: $vgpr8
	s_and_saveexec_b32 s28, s0
	s_delay_alu instid0(SALU_CYCLE_1)
	s_xor_b32 s28, exec_lo, s28
	s_cbranch_execz .LBB2_35
; %bb.34:                               ;   in Loop: Header=BB2_20 Depth=1
	ds_load_2addr_b32 v[8:9], v20 offset1:1
	ds_load_2addr_b32 v[12:13], v21 offset1:1
	;; [unrolled: 1-line block ×3, first 2 shown]
	ds_load_b32 v11, v3 offset:8220
	s_mov_b32 s19, exec_lo
	s_wait_dscnt 0x3
	v_add_f32_e32 v2, v2, v8
	s_delay_alu instid0(VALU_DEP_1) | instskip(SKIP_1) | instid1(VALU_DEP_1)
	v_add_f32_e32 v2, v2, v9
	s_wait_dscnt 0x2
	v_add_f32_e32 v2, v2, v12
	s_delay_alu instid0(VALU_DEP_1) | instskip(SKIP_1) | instid1(VALU_DEP_1)
	v_add_f32_e32 v2, v2, v13
	;; [unrolled: 4-line block ×3, first 2 shown]
	s_wait_dscnt 0x0
	v_add_f32_e32 v8, v2, v11
.LBB2_35:                               ;   in Loop: Header=BB2_20 Depth=1
	s_or_b32 exec_lo, exec_lo, s28
	s_delay_alu instid0(SALU_CYCLE_1)
	s_and_b32 vcc_lo, exec_lo, s27
	s_cbranch_vccnz .LBB2_38
.LBB2_36:                               ;   in Loop: Header=BB2_20 Depth=1
	s_delay_alu instid0(VALU_DEP_1)
	v_mov_b32_e32 v10, v8
	s_and_saveexec_b32 s27, s19
	s_cbranch_execnz .LBB2_39
	s_branch .LBB2_40
.LBB2_37:                               ;   in Loop: Header=BB2_20 Depth=1
	s_mov_b32 s19, 0
                                        ; implicit-def: $vgpr8
	s_cbranch_execz .LBB2_36
.LBB2_38:                               ;   in Loop: Header=BB2_20 Depth=1
	s_and_not1_b32 s19, s19, exec_lo
	s_and_b32 s27, s0, exec_lo
	s_delay_alu instid0(SALU_CYCLE_1) | instskip(NEXT) | instid1(SALU_CYCLE_1)
	s_or_b32 s19, s19, s27
	s_and_saveexec_b32 s27, s19
.LBB2_39:                               ;   in Loop: Header=BB2_20 Depth=1
	ds_store_b32 v3, v10 offset:8192
.LBB2_40:                               ;   in Loop: Header=BB2_20 Depth=1
	s_or_b32 exec_lo, exec_lo, s27
	s_wait_dscnt 0x0
	s_barrier_signal -1
	s_barrier_wait -1
	s_and_saveexec_b32 s19, s2
	s_cbranch_execz .LBB2_19
; %bb.41:                               ;   in Loop: Header=BB2_20 Depth=1
	global_load_b32 v2, v3, s[14:15]
	ds_load_b32 v8, v3 offset:8192
	v_mov_b32_e32 v10, v0
	s_mov_b32 s28, -1
	s_wait_loadcnt 0x0
	v_xor_b32_e32 v2, 0x80000000, v2
	s_wait_dscnt 0x0
	s_delay_alu instid0(VALU_DEP_1)
	v_mul_f32_e32 v8, v8, v2
	v_mov_b32_e32 v2, v4
	s_wait_xcnt 0x0
	s_and_saveexec_b32 s27, s3
	s_cbranch_execz .LBB2_52
; %bb.42:                               ;   in Loop: Header=BB2_20 Depth=1
	v_mov_b64_e32 v[10:11], v[0:1]
	v_dual_mov_b32 v9, v8 :: v_dual_mov_b32 v13, 0
	s_mul_i32 s28, s24, s25
	s_and_saveexec_b32 s29, s6
	s_cbranch_execz .LBB2_46
; %bb.43:                               ;   in Loop: Header=BB2_20 Depth=1
	v_mov_b64_e32 v[10:11], v[0:1]
	v_dual_mov_b32 v2, v17 :: v_dual_mov_b32 v12, v4
	s_add_co_i32 s30, s28, 0x200
	s_add_co_i32 s31, s28, 0x400
	;; [unrolled: 1-line block ×3, first 2 shown]
	s_mov_b32 s33, s30
	s_mov_b32 s34, s31
	;; [unrolled: 1-line block ×5, first 2 shown]
.LBB2_44:                               ;   Parent Loop BB2_20 Depth=1
                                        ; =>  This Inner Loop Header: Depth=2
	v_dual_add_nc_u32 v13, s28, v10 :: v_dual_add_nc_u32 v28, s28, v11
	v_dual_add_nc_u32 v29, s33, v11 :: v_dual_add_nc_u32 v30, s30, v10
	s_add_co_i32 s38, s38, 8
	s_clause 0x1
	global_load_b32 v24, v13, s[16:17] scale_offset
	global_load_b32 v25, v28, s[16:17] scale_offset
	ds_load_2addr_stride64_b32 v[26:27], v12 offset1:4
	v_add_nc_u32_e32 v2, -4, v2
	s_wait_loadcnt_dscnt 0x0
	v_pk_fma_f32 v[24:25], v[8:9], v[26:27], v[24:25]
	s_clause 0x3
	global_store_b32 v13, v24, s[16:17] scale_offset
	global_store_b32 v28, v25, s[16:17] scale_offset
	global_load_b32 v24, v30, s[16:17] scale_offset
	global_load_b32 v25, v29, s[16:17] scale_offset
	ds_load_2addr_stride64_b32 v[26:27], v12 offset0:8 offset1:12
	v_dual_add_nc_u32 v13, s34, v11 :: v_dual_add_nc_u32 v28, s31, v10
	s_wait_loadcnt_dscnt 0x0
	v_pk_fma_f32 v[24:25], v[8:9], v[26:27], v[24:25]
	s_clause 0x3
	global_store_b32 v30, v24, s[16:17] scale_offset
	global_store_b32 v29, v25, s[16:17] scale_offset
	global_load_b32 v24, v28, s[16:17] scale_offset
	global_load_b32 v25, v13, s[16:17] scale_offset
	ds_load_2addr_stride64_b32 v[26:27], v12 offset0:16 offset1:20
	v_dual_add_nc_u32 v29, s35, v10 :: v_dual_add_nc_u32 v30, s37, v11
	v_add_nc_u32_e32 v11, 0x800, v11
	v_add_nc_u32_e32 v10, 0x800, v10
	s_wait_loadcnt_dscnt 0x0
	v_pk_fma_f32 v[24:25], v[8:9], v[26:27], v[24:25]
	s_clause 0x3
	global_store_b32 v28, v24, s[16:17] scale_offset
	global_store_b32 v13, v25, s[16:17] scale_offset
	global_load_b32 v24, v29, s[16:17] scale_offset
	global_load_b32 v25, v30, s[16:17] scale_offset
	ds_load_2addr_stride64_b32 v[26:27], v12 offset0:24 offset1:28
	v_mov_b32_e32 v13, s38
	v_cmp_eq_u32_e32 vcc_lo, 0, v2
	v_add_nc_u32_e32 v12, 0x2000, v12
	s_or_b32 s36, vcc_lo, s36
	s_wait_loadcnt_dscnt 0x0
	v_pk_fma_f32 v[24:25], v[8:9], v[26:27], v[24:25]
	s_clause 0x1
	global_store_b32 v29, v24, s[16:17] scale_offset
	global_store_b32 v30, v25, s[16:17] scale_offset
	s_wait_xcnt 0x0
	s_and_not1_b32 exec_lo, exec_lo, s36
	s_cbranch_execnz .LBB2_44
; %bb.45:                               ;   in Loop: Header=BB2_20 Depth=1
	s_or_b32 exec_lo, exec_lo, s36
.LBB2_46:                               ;   in Loop: Header=BB2_20 Depth=1
	s_delay_alu instid0(SALU_CYCLE_1)
	s_or_b32 exec_lo, exec_lo, s29
	s_and_saveexec_b32 s29, s7
	s_cbranch_execz .LBB2_49
; %bb.47:                               ;   in Loop: Header=BB2_20 Depth=1
	v_lshl_or_b32 v2, v13, 10, v4
	v_mov_b32_e32 v12, v16
	s_mov_b32 s30, 0
.LBB2_48:                               ;   Parent Loop BB2_20 Depth=1
                                        ; =>  This Inner Loop Header: Depth=2
	v_dual_add_nc_u32 v13, s28, v10 :: v_dual_add_nc_u32 v28, s28, v11
	s_delay_alu instid0(VALU_DEP_2)
	v_add_nc_u32_e32 v12, -1, v12
	v_add_nc_u32_e32 v11, 0x200, v11
	v_add_nc_u32_e32 v10, 0x200, v10
	s_clause 0x1
	global_load_b32 v24, v13, s[16:17] scale_offset
	global_load_b32 v25, v28, s[16:17] scale_offset
	ds_load_2addr_stride64_b32 v[26:27], v2 offset1:4
	v_cmp_eq_u32_e32 vcc_lo, 0, v12
	v_add_nc_u32_e32 v2, 0x800, v2
	s_or_b32 s30, vcc_lo, s30
	s_wait_loadcnt_dscnt 0x0
	v_pk_fma_f32 v[24:25], v[8:9], v[26:27], v[24:25]
	s_clause 0x1
	global_store_b32 v13, v24, s[16:17] scale_offset
	global_store_b32 v28, v25, s[16:17] scale_offset
	s_wait_xcnt 0x0
	s_and_not1_b32 exec_lo, exec_lo, s30
	s_cbranch_execnz .LBB2_48
.LBB2_49:                               ;   in Loop: Header=BB2_20 Depth=1
	s_or_b32 exec_lo, exec_lo, s29
	s_mov_b32 s28, 0
	s_and_saveexec_b32 s29, s8
; %bb.50:                               ;   in Loop: Header=BB2_20 Depth=1
	s_mov_b32 s28, exec_lo
; %bb.51:                               ;   in Loop: Header=BB2_20 Depth=1
	s_or_b32 exec_lo, exec_lo, s29
	v_dual_mov_b32 v10, v15 :: v_dual_mov_b32 v2, v23
	s_or_not1_b32 s28, s28, exec_lo
.LBB2_52:                               ;   in Loop: Header=BB2_20 Depth=1
	s_or_b32 exec_lo, exec_lo, s27
	s_delay_alu instid0(SALU_CYCLE_1)
	s_and_b32 exec_lo, exec_lo, s28
	s_cbranch_execz .LBB2_19
; %bb.53:                               ;   in Loop: Header=BB2_20 Depth=1
	v_ashrrev_i32_e32 v11, 31, v10
	s_add_nc_u64 s[22:23], s[10:11], s[22:23]
	s_delay_alu instid0(VALU_DEP_1) | instid1(SALU_CYCLE_1)
	v_lshl_add_u64 v[12:13], v[10:11], 2, s[22:23]
	s_mov_b32 s22, 0
.LBB2_54:                               ;   Parent Loop BB2_20 Depth=1
                                        ; =>  This Inner Loop Header: Depth=2
	global_load_b32 v9, v[12:13], off
	ds_load_b32 v11, v2
	v_add_nc_u32_e32 v10, 0x100, v10
	s_wait_loadcnt_dscnt 0x0
	v_dual_fmac_f32 v9, v8, v11 :: v_dual_add_nc_u32 v2, 0x400, v2
	s_delay_alu instid0(VALU_DEP_2) | instskip(SKIP_4) | instid1(SALU_CYCLE_1)
	v_cmp_le_i32_e32 vcc_lo, s12, v10
	global_store_b32 v[12:13], v9, off
	s_wait_xcnt 0x0
	v_add_nc_u64_e32 v[12:13], 0x400, v[12:13]
	s_or_b32 s22, vcc_lo, s22
	s_and_not1_b32 exec_lo, exec_lo, s22
	s_cbranch_execnz .LBB2_54
	s_branch .LBB2_19
.LBB2_55:
	s_endpgm
	.section	.rodata,"a",@progbits
	.p2align	6, 0x0
	.amdhsa_kernel _ZN9rocsolver6v33100L22larf_left_kernel_smallILi256EfiPfEEvT1_S3_T2_lS3_lPKT0_lS4_lS3_l
		.amdhsa_group_segment_fixed_size 9216
		.amdhsa_private_segment_fixed_size 0
		.amdhsa_kernarg_size 88
		.amdhsa_user_sgpr_count 2
		.amdhsa_user_sgpr_dispatch_ptr 0
		.amdhsa_user_sgpr_queue_ptr 0
		.amdhsa_user_sgpr_kernarg_segment_ptr 1
		.amdhsa_user_sgpr_dispatch_id 0
		.amdhsa_user_sgpr_kernarg_preload_length 0
		.amdhsa_user_sgpr_kernarg_preload_offset 0
		.amdhsa_user_sgpr_private_segment_size 0
		.amdhsa_wavefront_size32 1
		.amdhsa_uses_dynamic_stack 0
		.amdhsa_enable_private_segment 0
		.amdhsa_system_sgpr_workgroup_id_x 1
		.amdhsa_system_sgpr_workgroup_id_y 1
		.amdhsa_system_sgpr_workgroup_id_z 0
		.amdhsa_system_sgpr_workgroup_info 0
		.amdhsa_system_vgpr_workitem_id 0
		.amdhsa_next_free_vgpr 36
		.amdhsa_next_free_sgpr 39
		.amdhsa_named_barrier_count 0
		.amdhsa_reserve_vcc 1
		.amdhsa_float_round_mode_32 0
		.amdhsa_float_round_mode_16_64 0
		.amdhsa_float_denorm_mode_32 3
		.amdhsa_float_denorm_mode_16_64 3
		.amdhsa_fp16_overflow 0
		.amdhsa_memory_ordered 1
		.amdhsa_forward_progress 1
		.amdhsa_inst_pref_size 26
		.amdhsa_round_robin_scheduling 0
		.amdhsa_exception_fp_ieee_invalid_op 0
		.amdhsa_exception_fp_denorm_src 0
		.amdhsa_exception_fp_ieee_div_zero 0
		.amdhsa_exception_fp_ieee_overflow 0
		.amdhsa_exception_fp_ieee_underflow 0
		.amdhsa_exception_fp_ieee_inexact 0
		.amdhsa_exception_int_div_zero 0
	.end_amdhsa_kernel
	.section	.text._ZN9rocsolver6v33100L22larf_left_kernel_smallILi256EfiPfEEvT1_S3_T2_lS3_lPKT0_lS4_lS3_l,"axG",@progbits,_ZN9rocsolver6v33100L22larf_left_kernel_smallILi256EfiPfEEvT1_S3_T2_lS3_lPKT0_lS4_lS3_l,comdat
.Lfunc_end2:
	.size	_ZN9rocsolver6v33100L22larf_left_kernel_smallILi256EfiPfEEvT1_S3_T2_lS3_lPKT0_lS4_lS3_l, .Lfunc_end2-_ZN9rocsolver6v33100L22larf_left_kernel_smallILi256EfiPfEEvT1_S3_T2_lS3_lPKT0_lS4_lS3_l
                                        ; -- End function
	.set _ZN9rocsolver6v33100L22larf_left_kernel_smallILi256EfiPfEEvT1_S3_T2_lS3_lPKT0_lS4_lS3_l.num_vgpr, 36
	.set _ZN9rocsolver6v33100L22larf_left_kernel_smallILi256EfiPfEEvT1_S3_T2_lS3_lPKT0_lS4_lS3_l.num_agpr, 0
	.set _ZN9rocsolver6v33100L22larf_left_kernel_smallILi256EfiPfEEvT1_S3_T2_lS3_lPKT0_lS4_lS3_l.numbered_sgpr, 39
	.set _ZN9rocsolver6v33100L22larf_left_kernel_smallILi256EfiPfEEvT1_S3_T2_lS3_lPKT0_lS4_lS3_l.num_named_barrier, 0
	.set _ZN9rocsolver6v33100L22larf_left_kernel_smallILi256EfiPfEEvT1_S3_T2_lS3_lPKT0_lS4_lS3_l.private_seg_size, 0
	.set _ZN9rocsolver6v33100L22larf_left_kernel_smallILi256EfiPfEEvT1_S3_T2_lS3_lPKT0_lS4_lS3_l.uses_vcc, 1
	.set _ZN9rocsolver6v33100L22larf_left_kernel_smallILi256EfiPfEEvT1_S3_T2_lS3_lPKT0_lS4_lS3_l.uses_flat_scratch, 0
	.set _ZN9rocsolver6v33100L22larf_left_kernel_smallILi256EfiPfEEvT1_S3_T2_lS3_lPKT0_lS4_lS3_l.has_dyn_sized_stack, 0
	.set _ZN9rocsolver6v33100L22larf_left_kernel_smallILi256EfiPfEEvT1_S3_T2_lS3_lPKT0_lS4_lS3_l.has_recursion, 0
	.set _ZN9rocsolver6v33100L22larf_left_kernel_smallILi256EfiPfEEvT1_S3_T2_lS3_lPKT0_lS4_lS3_l.has_indirect_call, 0
	.section	.AMDGPU.csdata,"",@progbits
; Kernel info:
; codeLenInByte = 3288
; TotalNumSgprs: 41
; NumVgprs: 36
; ScratchSize: 0
; MemoryBound: 0
; FloatMode: 240
; IeeeMode: 1
; LDSByteSize: 9216 bytes/workgroup (compile time only)
; SGPRBlocks: 0
; VGPRBlocks: 2
; NumSGPRsForWavesPerEU: 41
; NumVGPRsForWavesPerEU: 36
; NamedBarCnt: 0
; Occupancy: 16
; WaveLimiterHint : 1
; COMPUTE_PGM_RSRC2:SCRATCH_EN: 0
; COMPUTE_PGM_RSRC2:USER_SGPR: 2
; COMPUTE_PGM_RSRC2:TRAP_HANDLER: 0
; COMPUTE_PGM_RSRC2:TGID_X_EN: 1
; COMPUTE_PGM_RSRC2:TGID_Y_EN: 1
; COMPUTE_PGM_RSRC2:TGID_Z_EN: 0
; COMPUTE_PGM_RSRC2:TIDIG_COMP_CNT: 0
	.section	.text._ZN9rocsolver6v33100L22larf_left_kernel_smallILi512EfiPfEEvT1_S3_T2_lS3_lPKT0_lS4_lS3_l,"axG",@progbits,_ZN9rocsolver6v33100L22larf_left_kernel_smallILi512EfiPfEEvT1_S3_T2_lS3_lPKT0_lS4_lS3_l,comdat
	.globl	_ZN9rocsolver6v33100L22larf_left_kernel_smallILi512EfiPfEEvT1_S3_T2_lS3_lPKT0_lS4_lS3_l ; -- Begin function _ZN9rocsolver6v33100L22larf_left_kernel_smallILi512EfiPfEEvT1_S3_T2_lS3_lPKT0_lS4_lS3_l
	.p2align	8
	.type	_ZN9rocsolver6v33100L22larf_left_kernel_smallILi512EfiPfEEvT1_S3_T2_lS3_lPKT0_lS4_lS3_l,@function
_ZN9rocsolver6v33100L22larf_left_kernel_smallILi512EfiPfEEvT1_S3_T2_lS3_lPKT0_lS4_lS3_l: ; @_ZN9rocsolver6v33100L22larf_left_kernel_smallILi512EfiPfEEvT1_S3_T2_lS3_lPKT0_lS4_lS3_l
; %bb.0:
	s_clause 0x2
	s_load_b64 s[12:13], s[0:1], 0x0
	s_load_b256 s[4:11], s[0:1], 0x20
	s_load_b64 s[14:15], s[0:1], 0x40
	s_bfe_u32 s2, ttmp6, 0x4000c
	s_and_b32 s3, ttmp6, 15
	s_add_co_i32 s2, s2, 1
	s_getreg_b32 s18, hwreg(HW_REG_IB_STS2, 6, 4)
	s_mul_i32 s2, ttmp9, s2
	s_delay_alu instid0(SALU_CYCLE_1)
	s_add_co_i32 s3, s3, s2
	s_cmp_eq_u32 s18, 0
	s_cselect_b32 s16, ttmp9, s3
	s_mov_b32 s3, 0
	s_ashr_i32 s17, s16, 31
	s_wait_kmcnt 0x0
	v_cmp_gt_i32_e64 s2, s12, v0
	v_xad_u32 v4, v0, -1, s12
	s_and_saveexec_b32 s19, s2
	s_cbranch_execz .LBB3_17
; %bb.1:
	s_clause 0x1
	s_load_b128 s[24:27], s[0:1], 0x8
	s_load_b32 s20, s[0:1], 0x18
	s_mul_u64 s[4:5], s[4:5], s[16:17]
	s_sub_co_i32 s21, 1, s12
	s_lshl_b64 s[4:5], s[4:5], 2
                                        ; implicit-def: $vgpr1
                                        ; implicit-def: $vgpr2
	s_wait_kmcnt 0x0
	s_lshl_b64 s[22:23], s[26:27], 2
	s_add_nc_u64 s[4:5], s[24:25], s[4:5]
	s_mul_i32 s21, s20, s21
	s_cmp_lt_i32 s20, 1
	s_add_nc_u64 s[4:5], s[4:5], s[22:23]
	s_cselect_b32 s21, s21, 0
	s_mov_b32 s24, -1
	s_mov_b32 s22, exec_lo
	v_cmpx_lt_u32_e32 0x31ff, v4
	s_xor_b32 s22, exec_lo, s22
	s_cbranch_execnz .LBB3_4
; %bb.2:
	s_and_not1_saveexec_b32 s22, s22
	s_cbranch_execnz .LBB3_14
.LBB3_3:
	s_or_b32 exec_lo, exec_lo, s22
	s_delay_alu instid0(SALU_CYCLE_1)
	s_and_b32 exec_lo, exec_lo, s3
	s_cbranch_execnz .LBB3_15
	s_branch .LBB3_17
.LBB3_4:
	s_lshl_b32 s23, s20, 9
	v_mad_u32 v1, v0, s20, s21
	s_sub_co_i32 s3, 0, s23
	s_cmp_lt_i32 s23, 0
	v_lshrrev_b32_e32 v5, 9, v4
	s_cselect_b32 vcc_lo, -1, 0
	s_delay_alu instid0(SALU_CYCLE_1)
	s_and_b32 s25, vcc_lo, exec_lo
	s_cselect_b32 s25, s3, s23
	s_delay_alu instid0(VALU_DEP_1) | instid1(SALU_CYCLE_1)
	v_mul_lo_u32 v2, s25, v5
	s_delay_alu instid0(VALU_DEP_1) | instskip(NEXT) | instid1(VALU_DEP_1)
	v_sub_nc_u32_e32 v3, v1, v2
	v_cmp_gt_i32_e64 s3, v3, v1
	s_delay_alu instid0(VALU_DEP_1) | instskip(SKIP_1) | instid1(VALU_DEP_1)
	v_cndmask_b32_e64 v3, 0, 1, s3
	v_add_nc_u32_e32 v2, v1, v2
	v_cmp_lt_i32_e64 s3, v2, v1
	v_mul_hi_u32 v2, s25, v5
	s_delay_alu instid0(VALU_DEP_2) | instskip(NEXT) | instid1(VALU_DEP_1)
	v_cndmask_b32_e64 v1, 0, 1, s3
	v_cndmask_b32_e32 v1, v1, v3, vcc_lo
	s_delay_alu instid0(VALU_DEP_3) | instskip(NEXT) | instid1(VALU_DEP_2)
	v_cmp_eq_u32_e64 s3, 0, v2
	v_and_b32_e32 v1, 1, v1
	s_delay_alu instid0(VALU_DEP_1) | instskip(SKIP_2) | instid1(SALU_CYCLE_1)
	v_cmp_eq_u32_e32 vcc_lo, 1, v1
	v_mov_b32_e32 v1, v0
	s_xor_b32 s25, vcc_lo, -1
	s_and_b32 s25, s25, s3
	s_delay_alu instid0(SALU_CYCLE_1)
	s_and_saveexec_b32 s3, s25
	s_cbranch_execz .LBB3_13
; %bb.5:
	v_dual_mov_b32 v9, 0 :: v_dual_add_nc_u32 v2, -1, v5
	v_or_b32_e32 v1, 0x200, v0
	s_delay_alu instid0(VALU_DEP_2) | instskip(SKIP_1) | instid1(VALU_DEP_2)
	v_lshrrev_b32_e32 v3, 1, v2
	v_cmp_lt_u32_e32 vcc_lo, 5, v2
	v_add_nc_u32_e32 v6, 1, v3
	s_delay_alu instid0(VALU_DEP_4)
	v_mov_b64_e32 v[2:3], v[0:1]
	s_and_saveexec_b32 s24, vcc_lo
	s_cbranch_execz .LBB3_9
; %bb.6:
	v_mov_b64_e32 v[2:3], v[0:1]
	v_dual_lshlrev_b32 v8, 2, v0 :: v_dual_bitop2_b32 v7, -4, v6 bitop3:0x40
	s_mov_b32 s25, 0
	s_mov_b32 s26, 0
.LBB3_7:                                ; =>This Inner Loop Header: Depth=1
	s_delay_alu instid0(VALU_DEP_2)
	v_add_nc_u32_e32 v11, 0xc00, v3
	v_add_nc_u32_e32 v12, 0x800, v3
	;; [unrolled: 1-line block ×3, first 2 shown]
	v_mad_u32 v9, v2, s20, s21
	s_add_co_i32 s26, s26, 8
	v_add_nc_u32_e32 v10, 0x400, v2
	v_add_nc_u32_e32 v14, 0x800, v2
	v_mad_u32 v11, v11, s20, s21
	v_add_nc_u32_e32 v15, 0xc00, v2
	v_mad_u32 v12, v12, s20, s21
	v_mad_u32 v13, v13, s20, s21
	;; [unrolled: 1-line block ×6, first 2 shown]
	s_clause 0x7
	global_load_b32 v16, v9, s[4:5] scale_offset
	global_load_b32 v17, v11, s[4:5] scale_offset
	;; [unrolled: 1-line block ×8, first 2 shown]
	v_add_nc_u32_e32 v7, -4, v7
	v_add_nc_u32_e32 v3, 0x1000, v3
	s_wait_xcnt 0x7
	v_dual_mov_b32 v9, s26 :: v_dual_add_nc_u32 v2, 0x1000, v2
	s_wait_loadcnt 0x3
	ds_store_2addr_stride64_b32 v8, v16, v20 offset1:8
	s_wait_loadcnt 0x2
	ds_store_2addr_stride64_b32 v8, v21, v19 offset0:16 offset1:24
	s_wait_loadcnt 0x1
	ds_store_2addr_stride64_b32 v8, v22, v18 offset0:32 offset1:40
	;; [unrolled: 2-line block ×3, first 2 shown]
	v_cmp_eq_u32_e32 vcc_lo, 0, v7
	v_add_nc_u32_e32 v8, 0x4000, v8
	s_or_b32 s25, vcc_lo, s25
	s_wait_xcnt 0x0
	s_and_not1_b32 exec_lo, exec_lo, s25
	s_cbranch_execnz .LBB3_7
; %bb.8:
	s_or_b32 exec_lo, exec_lo, s25
.LBB3_9:
	s_delay_alu instid0(SALU_CYCLE_1) | instskip(SKIP_3) | instid1(VALU_DEP_1)
	s_or_b32 exec_lo, exec_lo, s24
	v_and_b32_e32 v1, 3, v6
	s_mov_b32 s25, 0
	s_mov_b32 s24, exec_lo
	v_cmpx_ne_u32_e32 0, v1
	s_cbranch_execz .LBB3_12
; %bb.10:
	v_lshlrev_b32_e32 v6, 2, v0
	s_delay_alu instid0(VALU_DEP_1)
	v_lshl_or_b32 v6, v9, 11, v6
.LBB3_11:                               ; =>This Inner Loop Header: Depth=1
	v_mad_u32 v7, v2, s20, s21
	v_mad_u32 v8, v3, s20, s21
	v_add_nc_u32_e32 v1, -1, v1
	v_add_nc_u32_e32 v3, 0x400, v3
	v_add_nc_u32_e32 v2, 0x400, v2
	s_clause 0x1
	global_load_b32 v9, v7, s[4:5] scale_offset
	global_load_b32 v10, v8, s[4:5] scale_offset
	v_cmp_eq_u32_e32 vcc_lo, 0, v1
	s_or_b32 s25, vcc_lo, s25
	s_wait_loadcnt 0x0
	ds_store_2addr_stride64_b32 v6, v9, v10 offset1:8
	v_add_nc_u32_e32 v6, 0x1000, v6
	s_and_not1_b32 exec_lo, exec_lo, s25
	s_cbranch_execnz .LBB3_11
.LBB3_12:
	s_or_b32 exec_lo, exec_lo, s24
	v_add_nc_u32_e32 v1, 1, v5
	s_delay_alu instid0(VALU_DEP_1) | instskip(NEXT) | instid1(VALU_DEP_1)
	v_and_b32_e32 v2, 0xfffffe, v1
	v_cmp_ne_u32_e32 vcc_lo, v1, v2
	v_lshl_or_b32 v1, v2, 9, v0
	s_or_not1_b32 s24, vcc_lo, exec_lo
.LBB3_13:
	s_or_b32 exec_lo, exec_lo, s3
	v_mov_b32_e32 v2, s23
	s_and_b32 s3, s24, exec_lo
	s_and_not1_saveexec_b32 s22, s22
	s_cbranch_execz .LBB3_3
.LBB3_14:
	s_lshl_b32 s23, s20, 9
	s_or_b32 s3, s3, exec_lo
	v_dual_mov_b32 v2, s23 :: v_dual_mov_b32 v1, v0
	s_or_b32 exec_lo, exec_lo, s22
	s_delay_alu instid0(SALU_CYCLE_1)
	s_and_b32 exec_lo, exec_lo, s3
	s_cbranch_execz .LBB3_17
.LBB3_15:
	s_delay_alu instid0(VALU_DEP_1)
	v_mad_u32 v3, v1, s20, s21
	v_lshlrev_b32_e32 v5, 2, v1
	s_mov_b32 s3, 0
.LBB3_16:                               ; =>This Inner Loop Header: Depth=1
	global_load_b32 v6, v3, s[4:5] scale_offset
	v_add_nc_u32_e32 v1, 0x200, v1
	s_wait_xcnt 0x0
	v_add_nc_u32_e32 v3, v3, v2
	s_delay_alu instid0(VALU_DEP_2)
	v_cmp_le_i32_e32 vcc_lo, s12, v1
	s_or_b32 s3, vcc_lo, s3
	s_wait_loadcnt 0x0
	ds_store_b32 v5, v6
	v_add_nc_u32_e32 v5, 0x800, v5
	s_and_not1_b32 exec_lo, exec_lo, s3
	s_cbranch_execnz .LBB3_16
.LBB3_17:
	s_or_b32 exec_lo, exec_lo, s19
	s_bfe_u32 s3, ttmp6, 0x40010
	s_bfe_u32 s4, ttmp6, 0x40004
	s_add_co_i32 s3, s3, 1
	s_wait_dscnt 0x0
	s_mul_i32 s3, ttmp7, s3
	s_barrier_signal -1
	s_add_co_i32 s4, s4, s3
	s_cmp_eq_u32 s18, 0
	s_barrier_wait -1
	s_cselect_b32 s24, ttmp7, s4
	s_delay_alu instid0(SALU_CYCLE_1)
	s_cmp_ge_i32 s24, s13
	s_cbranch_scc1 .LBB3_55
; %bb.18:
	s_clause 0x1
	s_load_b64 s[18:19], s[0:1], 0x50
	s_load_b32 s25, s[0:1], 0x48
	v_lshrrev_b32_e32 v1, 9, v4
	s_mul_u64 s[4:5], s[8:9], s[16:17]
	v_dual_lshrrev_b32 v14, 3, v0 :: v_dual_bitop2_b32 v2, 31, v0 bitop3:0x40
	s_lshl_b64 s[4:5], s[4:5], 2
	s_delay_alu instid0(VALU_DEP_2)
	v_add_nc_u32_e32 v6, 1, v1
	s_lshl_b64 s[20:21], s[14:15], 2
	s_add_nc_u64 s[14:15], s[6:7], s[4:5]
	v_cmp_eq_u32_e64 s4, 0, v2
	s_wait_xcnt 0x0
	v_cmp_lt_u32_e64 s1, 0xdff, v4
	v_dual_add_nc_u32 v5, -1, v1 :: v_dual_bitop2_b32 v8, 7, v6 bitop3:0x40
	v_cmp_lt_u32_e64 s3, 0x1ff, v4
	v_mbcnt_lo_u32_b32 v18, -1, 0
	v_mov_b32_e32 v3, 0
	v_cmp_eq_u32_e64 s0, 0, v0
	v_lshrrev_b32_e32 v1, 1, v5
	v_cmp_ne_u32_e64 s5, 0, v8
	s_wait_kmcnt 0x0
	s_mul_u64 s[6:7], s[18:19], s[16:17]
	v_lshl_or_b32 v19, v18, 2, 64
	s_lshl_b64 s[18:19], s[6:7], 2
	v_add_nc_u32_e32 v2, 1, v1
	s_add_nc_u64 s[6:7], s[10:11], s[18:19]
	s_add_nc_u64 s[18:19], s[18:19], s[20:21]
	;; [unrolled: 1-line block ×3, first 2 shown]
	v_cmp_lt_u32_e64 s6, 5, v5
	v_and_b32_e32 v16, 3, v2
	v_and_b32_e32 v7, 0xfffffe, v6
	v_dual_lshlrev_b32 v4, 2, v0 :: v_dual_bitop2_b32 v17, -4, v2 bitop3:0x40
	v_dual_mov_b32 v5, v3 :: v_dual_mov_b32 v20, 0x2004
	s_add_nc_u64 s[10:11], s[10:11], s[18:19]
	s_delay_alu instid0(VALU_DEP_3) | instskip(SKIP_1) | instid1(VALU_DEP_3)
	v_lshl_or_b32 v15, v7, 9, v0
	v_cmp_ne_u32_e64 s8, v6, v7
	v_add_nc_u64_e32 v[6:7], s[10:11], v[4:5]
	v_or_b32_e32 v1, 0x200, v0
	v_cmp_ne_u32_e64 s7, 0, v16
	v_dual_mov_b32 v22, 0x2014 :: v_dual_lshlrev_b32 v5, 2, v8
	v_mov_b32_e32 v21, 0x200c
	v_mov_b32_e32 v23, 0x201c
	;; [unrolled: 1-line block ×5, first 2 shown]
	s_cmp_gt_i32 s12, 1
	s_mul_i32 s18, s24, s25
	s_cselect_b32 s9, -1, 0
	s_lshl_b32 s26, s25, 6
	s_add_nc_u64 s[20:21], s[10:11], 0x3800
	s_branch .LBB3_20
.LBB3_19:                               ;   in Loop: Header=BB3_20 Depth=1
	s_or_b32 exec_lo, exec_lo, s19
	s_add_co_i32 s24, s24, 64
	s_add_co_i32 s18, s18, s26
	s_cmp_ge_i32 s24, s13
	s_cbranch_scc1 .LBB3_55
.LBB3_20:                               ; =>This Loop Header: Depth=1
                                        ;     Child Loop BB3_23 Depth 2
                                        ;     Child Loop BB3_27 Depth 2
	;; [unrolled: 1-line block ×5, first 2 shown]
	v_mov_b32_e32 v10, 0
	s_ashr_i32 s19, s18, 31
	s_delay_alu instid0(SALU_CYCLE_1)
	s_lshl_b64 s[22:23], s[18:19], 2
	s_and_saveexec_b32 s19, s2
	s_cbranch_execz .LBB3_30
; %bb.21:                               ;   in Loop: Header=BB3_20 Depth=1
	v_dual_mov_b32 v10, 0 :: v_dual_mov_b32 v2, v0
	s_and_saveexec_b32 s27, s5
	s_cbranch_execz .LBB3_25
; %bb.22:                               ;   in Loop: Header=BB3_20 Depth=1
	v_add_nc_u64_e32 v[8:9], s[22:23], v[6:7]
	v_dual_mov_b32 v10, 0 :: v_dual_mov_b32 v11, v5
	v_dual_mov_b32 v12, v4 :: v_dual_mov_b32 v2, v0
	s_mov_b32 s28, 0
.LBB3_23:                               ;   Parent Loop BB3_20 Depth=1
                                        ; =>  This Inner Loop Header: Depth=2
	global_load_b32 v13, v[8:9], off
	ds_load_b32 v27, v12
	v_add_nc_u32_e32 v11, -4, v11
	s_wait_xcnt 0x0
	v_add_nc_u64_e32 v[8:9], 0x800, v[8:9]
	v_add_nc_u32_e32 v2, 0x200, v2
	v_add_nc_u32_e32 v12, 0x800, v12
	s_wait_loadcnt_dscnt 0x0
	v_fmac_f32_e32 v10, v27, v13
	v_cmp_eq_u32_e32 vcc_lo, 0, v11
	s_or_b32 s28, vcc_lo, s28
	s_delay_alu instid0(SALU_CYCLE_1)
	s_and_not1_b32 exec_lo, exec_lo, s28
	s_cbranch_execnz .LBB3_23
; %bb.24:                               ;   in Loop: Header=BB3_20 Depth=1
	s_or_b32 exec_lo, exec_lo, s28
.LBB3_25:                               ;   in Loop: Header=BB3_20 Depth=1
	s_delay_alu instid0(SALU_CYCLE_1)
	s_or_b32 exec_lo, exec_lo, s27
	s_and_saveexec_b32 s27, s1
	s_cbranch_execz .LBB3_29
; %bb.26:                               ;   in Loop: Header=BB3_20 Depth=1
	s_add_nc_u64 s[28:29], s[20:21], s[22:23]
	v_lshlrev_b32_e32 v11, 2, v2
	v_lshl_add_u64 v[8:9], v[2:3], 2, s[28:29]
	s_mov_b32 s28, 0
.LBB3_27:                               ;   Parent Loop BB3_20 Depth=1
                                        ; =>  This Inner Loop Header: Depth=2
	s_clause 0x7
	global_load_b32 v27, v[8:9], off offset:-14336
	global_load_b32 v32, v[8:9], off offset:-12288
	;; [unrolled: 1-line block ×7, first 2 shown]
	global_load_b32 v38, v[8:9], off
	ds_load_2addr_stride64_b32 v[12:13], v11 offset1:8
	ds_load_2addr_stride64_b32 v[28:29], v11 offset0:16 offset1:24
	ds_load_2addr_stride64_b32 v[30:31], v11 offset0:32 offset1:40
	v_add_nc_u32_e32 v2, 0x1000, v2
	s_wait_xcnt 0x0
	v_add_nc_u64_e32 v[8:9], 0x4000, v[8:9]
	s_delay_alu instid0(VALU_DEP_2) | instskip(SKIP_4) | instid1(VALU_DEP_1)
	v_cmp_le_i32_e32 vcc_lo, s12, v2
	s_or_b32 s28, vcc_lo, s28
	s_wait_loadcnt_dscnt 0x702
	v_fmac_f32_e32 v10, v12, v27
	s_wait_loadcnt 0x6
	v_fmac_f32_e32 v10, v13, v32
	ds_load_2addr_stride64_b32 v[12:13], v11 offset0:48 offset1:56
	s_wait_loadcnt_dscnt 0x502
	v_dual_fmac_f32 v10, v28, v33 :: v_dual_add_nc_u32 v11, 0x4000, v11
	s_wait_loadcnt 0x4
	s_delay_alu instid0(VALU_DEP_1) | instskip(SKIP_1) | instid1(VALU_DEP_1)
	v_fmac_f32_e32 v10, v29, v34
	s_wait_loadcnt_dscnt 0x301
	v_fmac_f32_e32 v10, v30, v35
	s_wait_loadcnt 0x2
	s_delay_alu instid0(VALU_DEP_1) | instskip(SKIP_1) | instid1(VALU_DEP_1)
	v_fmac_f32_e32 v10, v31, v36
	s_wait_loadcnt_dscnt 0x100
	v_fmac_f32_e32 v10, v12, v37
	s_wait_loadcnt 0x0
	s_delay_alu instid0(VALU_DEP_1)
	v_fmac_f32_e32 v10, v13, v38
	s_and_not1_b32 exec_lo, exec_lo, s28
	s_cbranch_execnz .LBB3_27
; %bb.28:                               ;   in Loop: Header=BB3_20 Depth=1
	s_or_b32 exec_lo, exec_lo, s28
.LBB3_29:                               ;   in Loop: Header=BB3_20 Depth=1
	s_delay_alu instid0(SALU_CYCLE_1)
	s_or_b32 exec_lo, exec_lo, s27
.LBB3_30:                               ;   in Loop: Header=BB3_20 Depth=1
	s_delay_alu instid0(SALU_CYCLE_1) | instskip(NEXT) | instid1(SALU_CYCLE_1)
	s_or_b32 exec_lo, exec_lo, s19
	s_and_b32 vcc_lo, exec_lo, s9
	s_cbranch_vccz .LBB3_37
; %bb.31:                               ;   in Loop: Header=BB3_20 Depth=1
	v_cmp_ne_u32_e32 vcc_lo, 31, v18
	v_add_co_ci_u32_e64 v2, null, 0, v18, vcc_lo
	v_cmp_gt_u32_e32 vcc_lo, 30, v18
	s_delay_alu instid0(VALU_DEP_2)
	v_lshlrev_b32_e32 v2, 2, v2
	v_cndmask_b32_e64 v8, 0, 2, vcc_lo
	v_cmp_gt_u32_e32 vcc_lo, 28, v18
	ds_bpermute_b32 v2, v2, v10
	v_add_lshl_u32 v8, v8, v18, 2
	v_cndmask_b32_e64 v9, 0, 4, vcc_lo
	v_cmp_gt_u32_e32 vcc_lo, 24, v18
	s_delay_alu instid0(VALU_DEP_2)
	v_add_lshl_u32 v9, v9, v18, 2
	s_wait_dscnt 0x0
	v_add_f32_e32 v2, v10, v2
	ds_bpermute_b32 v8, v8, v2
	s_wait_dscnt 0x0
	v_add_f32_e32 v2, v2, v8
	ds_bpermute_b32 v8, v9, v2
	v_cndmask_b32_e64 v9, 0, 8, vcc_lo
	s_wait_dscnt 0x0
	v_add_f32_e32 v2, v2, v8
	s_delay_alu instid0(VALU_DEP_2)
	v_add_lshl_u32 v8, v9, v18, 2
	ds_bpermute_b32 v8, v8, v2
	s_wait_dscnt 0x0
	v_add_f32_e32 v2, v2, v8
	ds_bpermute_b32 v8, v19, v2
	s_wait_dscnt 0x0
	v_add_f32_e32 v2, v2, v8
	s_and_saveexec_b32 s19, s4
; %bb.32:                               ;   in Loop: Header=BB3_20 Depth=1
	ds_store_b32 v14, v2 offset:8192
; %bb.33:                               ;   in Loop: Header=BB3_20 Depth=1
	s_or_b32 exec_lo, exec_lo, s19
	s_mov_b32 s27, 0
	s_mov_b32 s19, 0
	s_wait_dscnt 0x0
	s_barrier_signal -1
	s_barrier_wait -1
                                        ; implicit-def: $vgpr8
	s_and_saveexec_b32 s28, s0
	s_delay_alu instid0(SALU_CYCLE_1)
	s_xor_b32 s28, exec_lo, s28
	s_cbranch_execz .LBB3_35
; %bb.34:                               ;   in Loop: Header=BB3_20 Depth=1
	ds_load_2addr_b32 v[8:9], v20 offset1:1
	ds_load_2addr_b32 v[12:13], v21 offset1:1
	;; [unrolled: 1-line block ×4, first 2 shown]
	s_mov_b32 s19, exec_lo
	s_wait_dscnt 0x3
	v_add_f32_e32 v2, v2, v8
	s_delay_alu instid0(VALU_DEP_1) | instskip(SKIP_3) | instid1(VALU_DEP_1)
	v_add_f32_e32 v2, v2, v9
	ds_load_2addr_b32 v[8:9], v24 offset1:1
	s_wait_dscnt 0x3
	v_add_f32_e32 v2, v2, v12
	v_add_f32_e32 v2, v2, v13
	ds_load_2addr_b32 v[12:13], v25 offset1:1
	s_wait_dscnt 0x3
	v_add_f32_e32 v2, v2, v28
	s_delay_alu instid0(VALU_DEP_1) | instskip(SKIP_4) | instid1(VALU_DEP_1)
	v_add_f32_e32 v2, v2, v29
	ds_load_2addr_b32 v[28:29], v26 offset1:1
	ds_load_b32 v11, v3 offset:8252
	s_wait_dscnt 0x4
	v_add_f32_e32 v2, v2, v30
	v_add_f32_e32 v2, v2, v31
	s_wait_dscnt 0x3
	s_delay_alu instid0(VALU_DEP_1) | instskip(NEXT) | instid1(VALU_DEP_1)
	v_add_f32_e32 v2, v2, v8
	v_add_f32_e32 v2, v2, v9
	s_wait_dscnt 0x2
	s_delay_alu instid0(VALU_DEP_1) | instskip(NEXT) | instid1(VALU_DEP_1)
	;; [unrolled: 4-line block ×3, first 2 shown]
	v_add_f32_e32 v2, v2, v28
	v_add_f32_e32 v2, v2, v29
	s_wait_dscnt 0x0
	s_delay_alu instid0(VALU_DEP_1)
	v_add_f32_e32 v8, v2, v11
.LBB3_35:                               ;   in Loop: Header=BB3_20 Depth=1
	s_or_b32 exec_lo, exec_lo, s28
	s_delay_alu instid0(SALU_CYCLE_1)
	s_and_b32 vcc_lo, exec_lo, s27
	s_cbranch_vccnz .LBB3_38
.LBB3_36:                               ;   in Loop: Header=BB3_20 Depth=1
	s_delay_alu instid0(VALU_DEP_1)
	v_mov_b32_e32 v10, v8
	s_and_saveexec_b32 s27, s19
	s_cbranch_execnz .LBB3_39
	s_branch .LBB3_40
.LBB3_37:                               ;   in Loop: Header=BB3_20 Depth=1
	s_mov_b32 s19, 0
                                        ; implicit-def: $vgpr8
	s_cbranch_execz .LBB3_36
.LBB3_38:                               ;   in Loop: Header=BB3_20 Depth=1
	s_and_not1_b32 s19, s19, exec_lo
	s_and_b32 s27, s0, exec_lo
	s_delay_alu instid0(SALU_CYCLE_1) | instskip(NEXT) | instid1(SALU_CYCLE_1)
	s_or_b32 s19, s19, s27
	s_and_saveexec_b32 s27, s19
.LBB3_39:                               ;   in Loop: Header=BB3_20 Depth=1
	ds_store_b32 v3, v10 offset:8192
.LBB3_40:                               ;   in Loop: Header=BB3_20 Depth=1
	s_or_b32 exec_lo, exec_lo, s27
	s_wait_dscnt 0x0
	s_barrier_signal -1
	s_barrier_wait -1
	s_and_saveexec_b32 s19, s2
	s_cbranch_execz .LBB3_19
; %bb.41:                               ;   in Loop: Header=BB3_20 Depth=1
	global_load_b32 v2, v3, s[14:15]
	ds_load_b32 v8, v3 offset:8192
	v_mov_b32_e32 v10, v0
	s_mov_b32 s28, -1
	s_wait_loadcnt 0x0
	v_xor_b32_e32 v2, 0x80000000, v2
	s_wait_dscnt 0x0
	s_delay_alu instid0(VALU_DEP_1)
	v_mul_f32_e32 v8, v8, v2
	v_mov_b32_e32 v2, v4
	s_wait_xcnt 0x0
	s_and_saveexec_b32 s27, s3
	s_cbranch_execz .LBB3_52
; %bb.42:                               ;   in Loop: Header=BB3_20 Depth=1
	v_mov_b64_e32 v[10:11], v[0:1]
	v_dual_mov_b32 v9, v8 :: v_dual_mov_b32 v13, 0
	s_mul_i32 s28, s24, s25
	s_and_saveexec_b32 s29, s6
	s_cbranch_execz .LBB3_46
; %bb.43:                               ;   in Loop: Header=BB3_20 Depth=1
	v_mov_b64_e32 v[10:11], v[0:1]
	v_dual_mov_b32 v2, v17 :: v_dual_mov_b32 v12, v4
	s_add_co_i32 s30, s28, 0x400
	s_add_co_i32 s31, s28, 0x800
	;; [unrolled: 1-line block ×3, first 2 shown]
	s_mov_b32 s33, s30
	s_mov_b32 s34, s31
	;; [unrolled: 1-line block ×5, first 2 shown]
.LBB3_44:                               ;   Parent Loop BB3_20 Depth=1
                                        ; =>  This Inner Loop Header: Depth=2
	v_dual_add_nc_u32 v13, s28, v10 :: v_dual_add_nc_u32 v27, s28, v11
	v_dual_add_nc_u32 v32, s33, v11 :: v_dual_add_nc_u32 v33, s30, v10
	s_add_co_i32 s38, s38, 8
	s_clause 0x1
	global_load_b32 v28, v13, s[16:17] scale_offset
	global_load_b32 v29, v27, s[16:17] scale_offset
	ds_load_2addr_stride64_b32 v[30:31], v12 offset1:8
	v_add_nc_u32_e32 v2, -4, v2
	s_wait_loadcnt_dscnt 0x0
	v_pk_fma_f32 v[28:29], v[8:9], v[30:31], v[28:29]
	s_clause 0x3
	global_store_b32 v13, v28, s[16:17] scale_offset
	global_store_b32 v27, v29, s[16:17] scale_offset
	global_load_b32 v28, v33, s[16:17] scale_offset
	global_load_b32 v29, v32, s[16:17] scale_offset
	ds_load_2addr_stride64_b32 v[30:31], v12 offset0:16 offset1:24
	v_dual_add_nc_u32 v13, s34, v11 :: v_dual_add_nc_u32 v27, s31, v10
	s_wait_loadcnt_dscnt 0x0
	v_pk_fma_f32 v[28:29], v[8:9], v[30:31], v[28:29]
	s_clause 0x3
	global_store_b32 v33, v28, s[16:17] scale_offset
	global_store_b32 v32, v29, s[16:17] scale_offset
	global_load_b32 v28, v27, s[16:17] scale_offset
	global_load_b32 v29, v13, s[16:17] scale_offset
	ds_load_2addr_stride64_b32 v[30:31], v12 offset0:32 offset1:40
	v_dual_add_nc_u32 v32, s35, v10 :: v_dual_add_nc_u32 v33, s37, v11
	v_add_nc_u32_e32 v11, 0x1000, v11
	v_add_nc_u32_e32 v10, 0x1000, v10
	s_wait_loadcnt_dscnt 0x0
	v_pk_fma_f32 v[28:29], v[8:9], v[30:31], v[28:29]
	s_clause 0x3
	global_store_b32 v27, v28, s[16:17] scale_offset
	global_store_b32 v13, v29, s[16:17] scale_offset
	global_load_b32 v28, v32, s[16:17] scale_offset
	global_load_b32 v29, v33, s[16:17] scale_offset
	ds_load_2addr_stride64_b32 v[30:31], v12 offset0:48 offset1:56
	v_mov_b32_e32 v13, s38
	v_cmp_eq_u32_e32 vcc_lo, 0, v2
	v_add_nc_u32_e32 v12, 0x4000, v12
	s_or_b32 s36, vcc_lo, s36
	s_wait_loadcnt_dscnt 0x0
	v_pk_fma_f32 v[28:29], v[8:9], v[30:31], v[28:29]
	s_clause 0x1
	global_store_b32 v32, v28, s[16:17] scale_offset
	global_store_b32 v33, v29, s[16:17] scale_offset
	s_wait_xcnt 0x0
	s_and_not1_b32 exec_lo, exec_lo, s36
	s_cbranch_execnz .LBB3_44
; %bb.45:                               ;   in Loop: Header=BB3_20 Depth=1
	s_or_b32 exec_lo, exec_lo, s36
.LBB3_46:                               ;   in Loop: Header=BB3_20 Depth=1
	s_delay_alu instid0(SALU_CYCLE_1)
	s_or_b32 exec_lo, exec_lo, s29
	s_and_saveexec_b32 s29, s7
	s_cbranch_execz .LBB3_49
; %bb.47:                               ;   in Loop: Header=BB3_20 Depth=1
	v_lshl_or_b32 v2, v13, 11, v4
	v_mov_b32_e32 v12, v16
	s_mov_b32 s30, 0
.LBB3_48:                               ;   Parent Loop BB3_20 Depth=1
                                        ; =>  This Inner Loop Header: Depth=2
	v_dual_add_nc_u32 v13, s28, v10 :: v_dual_add_nc_u32 v27, s28, v11
	s_delay_alu instid0(VALU_DEP_2)
	v_add_nc_u32_e32 v12, -1, v12
	v_add_nc_u32_e32 v11, 0x400, v11
	v_add_nc_u32_e32 v10, 0x400, v10
	s_clause 0x1
	global_load_b32 v28, v13, s[16:17] scale_offset
	global_load_b32 v29, v27, s[16:17] scale_offset
	ds_load_2addr_stride64_b32 v[30:31], v2 offset1:8
	v_cmp_eq_u32_e32 vcc_lo, 0, v12
	v_add_nc_u32_e32 v2, 0x1000, v2
	s_or_b32 s30, vcc_lo, s30
	s_wait_loadcnt_dscnt 0x0
	v_pk_fma_f32 v[28:29], v[8:9], v[30:31], v[28:29]
	s_clause 0x1
	global_store_b32 v13, v28, s[16:17] scale_offset
	global_store_b32 v27, v29, s[16:17] scale_offset
	s_wait_xcnt 0x0
	s_and_not1_b32 exec_lo, exec_lo, s30
	s_cbranch_execnz .LBB3_48
.LBB3_49:                               ;   in Loop: Header=BB3_20 Depth=1
	s_or_b32 exec_lo, exec_lo, s29
	s_mov_b32 s28, 0
                                        ; implicit-def: $vgpr2
	s_and_saveexec_b32 s29, s8
; %bb.50:                               ;   in Loop: Header=BB3_20 Depth=1
	v_lshlrev_b32_e32 v2, 2, v15
	s_mov_b32 s28, exec_lo
; %bb.51:                               ;   in Loop: Header=BB3_20 Depth=1
	s_or_b32 exec_lo, exec_lo, s29
	v_mov_b32_e32 v10, v15
	s_or_not1_b32 s28, s28, exec_lo
.LBB3_52:                               ;   in Loop: Header=BB3_20 Depth=1
	s_or_b32 exec_lo, exec_lo, s27
	s_delay_alu instid0(SALU_CYCLE_1)
	s_and_b32 exec_lo, exec_lo, s28
	s_cbranch_execz .LBB3_19
; %bb.53:                               ;   in Loop: Header=BB3_20 Depth=1
	v_ashrrev_i32_e32 v11, 31, v10
	s_add_nc_u64 s[22:23], s[10:11], s[22:23]
	s_delay_alu instid0(VALU_DEP_1) | instid1(SALU_CYCLE_1)
	v_lshl_add_u64 v[12:13], v[10:11], 2, s[22:23]
	s_mov_b32 s22, 0
.LBB3_54:                               ;   Parent Loop BB3_20 Depth=1
                                        ; =>  This Inner Loop Header: Depth=2
	global_load_b32 v9, v[12:13], off
	ds_load_b32 v11, v2
	v_add_nc_u32_e32 v10, 0x200, v10
	s_wait_loadcnt_dscnt 0x0
	v_dual_fmac_f32 v9, v8, v11 :: v_dual_add_nc_u32 v2, 0x800, v2
	s_delay_alu instid0(VALU_DEP_2) | instskip(SKIP_4) | instid1(SALU_CYCLE_1)
	v_cmp_le_i32_e32 vcc_lo, s12, v10
	global_store_b32 v[12:13], v9, off
	s_wait_xcnt 0x0
	v_add_nc_u64_e32 v[12:13], 0x800, v[12:13]
	s_or_b32 s22, vcc_lo, s22
	s_and_not1_b32 exec_lo, exec_lo, s22
	s_cbranch_execnz .LBB3_54
	s_branch .LBB3_19
.LBB3_55:
	s_endpgm
	.section	.rodata,"a",@progbits
	.p2align	6, 0x0
	.amdhsa_kernel _ZN9rocsolver6v33100L22larf_left_kernel_smallILi512EfiPfEEvT1_S3_T2_lS3_lPKT0_lS4_lS3_l
		.amdhsa_group_segment_fixed_size 10240
		.amdhsa_private_segment_fixed_size 0
		.amdhsa_kernarg_size 88
		.amdhsa_user_sgpr_count 2
		.amdhsa_user_sgpr_dispatch_ptr 0
		.amdhsa_user_sgpr_queue_ptr 0
		.amdhsa_user_sgpr_kernarg_segment_ptr 1
		.amdhsa_user_sgpr_dispatch_id 0
		.amdhsa_user_sgpr_kernarg_preload_length 0
		.amdhsa_user_sgpr_kernarg_preload_offset 0
		.amdhsa_user_sgpr_private_segment_size 0
		.amdhsa_wavefront_size32 1
		.amdhsa_uses_dynamic_stack 0
		.amdhsa_enable_private_segment 0
		.amdhsa_system_sgpr_workgroup_id_x 1
		.amdhsa_system_sgpr_workgroup_id_y 1
		.amdhsa_system_sgpr_workgroup_id_z 0
		.amdhsa_system_sgpr_workgroup_info 0
		.amdhsa_system_vgpr_workitem_id 0
		.amdhsa_next_free_vgpr 39
		.amdhsa_next_free_sgpr 39
		.amdhsa_named_barrier_count 0
		.amdhsa_reserve_vcc 1
		.amdhsa_float_round_mode_32 0
		.amdhsa_float_round_mode_16_64 0
		.amdhsa_float_denorm_mode_32 3
		.amdhsa_float_denorm_mode_16_64 3
		.amdhsa_fp16_overflow 0
		.amdhsa_memory_ordered 1
		.amdhsa_forward_progress 1
		.amdhsa_inst_pref_size 27
		.amdhsa_round_robin_scheduling 0
		.amdhsa_exception_fp_ieee_invalid_op 0
		.amdhsa_exception_fp_denorm_src 0
		.amdhsa_exception_fp_ieee_div_zero 0
		.amdhsa_exception_fp_ieee_overflow 0
		.amdhsa_exception_fp_ieee_underflow 0
		.amdhsa_exception_fp_ieee_inexact 0
		.amdhsa_exception_int_div_zero 0
	.end_amdhsa_kernel
	.section	.text._ZN9rocsolver6v33100L22larf_left_kernel_smallILi512EfiPfEEvT1_S3_T2_lS3_lPKT0_lS4_lS3_l,"axG",@progbits,_ZN9rocsolver6v33100L22larf_left_kernel_smallILi512EfiPfEEvT1_S3_T2_lS3_lPKT0_lS4_lS3_l,comdat
.Lfunc_end3:
	.size	_ZN9rocsolver6v33100L22larf_left_kernel_smallILi512EfiPfEEvT1_S3_T2_lS3_lPKT0_lS4_lS3_l, .Lfunc_end3-_ZN9rocsolver6v33100L22larf_left_kernel_smallILi512EfiPfEEvT1_S3_T2_lS3_lPKT0_lS4_lS3_l
                                        ; -- End function
	.set _ZN9rocsolver6v33100L22larf_left_kernel_smallILi512EfiPfEEvT1_S3_T2_lS3_lPKT0_lS4_lS3_l.num_vgpr, 39
	.set _ZN9rocsolver6v33100L22larf_left_kernel_smallILi512EfiPfEEvT1_S3_T2_lS3_lPKT0_lS4_lS3_l.num_agpr, 0
	.set _ZN9rocsolver6v33100L22larf_left_kernel_smallILi512EfiPfEEvT1_S3_T2_lS3_lPKT0_lS4_lS3_l.numbered_sgpr, 39
	.set _ZN9rocsolver6v33100L22larf_left_kernel_smallILi512EfiPfEEvT1_S3_T2_lS3_lPKT0_lS4_lS3_l.num_named_barrier, 0
	.set _ZN9rocsolver6v33100L22larf_left_kernel_smallILi512EfiPfEEvT1_S3_T2_lS3_lPKT0_lS4_lS3_l.private_seg_size, 0
	.set _ZN9rocsolver6v33100L22larf_left_kernel_smallILi512EfiPfEEvT1_S3_T2_lS3_lPKT0_lS4_lS3_l.uses_vcc, 1
	.set _ZN9rocsolver6v33100L22larf_left_kernel_smallILi512EfiPfEEvT1_S3_T2_lS3_lPKT0_lS4_lS3_l.uses_flat_scratch, 0
	.set _ZN9rocsolver6v33100L22larf_left_kernel_smallILi512EfiPfEEvT1_S3_T2_lS3_lPKT0_lS4_lS3_l.has_dyn_sized_stack, 0
	.set _ZN9rocsolver6v33100L22larf_left_kernel_smallILi512EfiPfEEvT1_S3_T2_lS3_lPKT0_lS4_lS3_l.has_recursion, 0
	.set _ZN9rocsolver6v33100L22larf_left_kernel_smallILi512EfiPfEEvT1_S3_T2_lS3_lPKT0_lS4_lS3_l.has_indirect_call, 0
	.section	.AMDGPU.csdata,"",@progbits
; Kernel info:
; codeLenInByte = 3400
; TotalNumSgprs: 41
; NumVgprs: 39
; ScratchSize: 0
; MemoryBound: 0
; FloatMode: 240
; IeeeMode: 1
; LDSByteSize: 10240 bytes/workgroup (compile time only)
; SGPRBlocks: 0
; VGPRBlocks: 2
; NumSGPRsForWavesPerEU: 41
; NumVGPRsForWavesPerEU: 39
; NamedBarCnt: 0
; Occupancy: 16
; WaveLimiterHint : 1
; COMPUTE_PGM_RSRC2:SCRATCH_EN: 0
; COMPUTE_PGM_RSRC2:USER_SGPR: 2
; COMPUTE_PGM_RSRC2:TRAP_HANDLER: 0
; COMPUTE_PGM_RSRC2:TGID_X_EN: 1
; COMPUTE_PGM_RSRC2:TGID_Y_EN: 1
; COMPUTE_PGM_RSRC2:TGID_Z_EN: 0
; COMPUTE_PGM_RSRC2:TIDIG_COMP_CNT: 0
	.section	.text._ZN9rocsolver6v33100L22larf_left_kernel_smallILi1024EfiPfEEvT1_S3_T2_lS3_lPKT0_lS4_lS3_l,"axG",@progbits,_ZN9rocsolver6v33100L22larf_left_kernel_smallILi1024EfiPfEEvT1_S3_T2_lS3_lPKT0_lS4_lS3_l,comdat
	.globl	_ZN9rocsolver6v33100L22larf_left_kernel_smallILi1024EfiPfEEvT1_S3_T2_lS3_lPKT0_lS4_lS3_l ; -- Begin function _ZN9rocsolver6v33100L22larf_left_kernel_smallILi1024EfiPfEEvT1_S3_T2_lS3_lPKT0_lS4_lS3_l
	.p2align	8
	.type	_ZN9rocsolver6v33100L22larf_left_kernel_smallILi1024EfiPfEEvT1_S3_T2_lS3_lPKT0_lS4_lS3_l,@function
_ZN9rocsolver6v33100L22larf_left_kernel_smallILi1024EfiPfEEvT1_S3_T2_lS3_lPKT0_lS4_lS3_l: ; @_ZN9rocsolver6v33100L22larf_left_kernel_smallILi1024EfiPfEEvT1_S3_T2_lS3_lPKT0_lS4_lS3_l
; %bb.0:
	s_clause 0x2
	s_load_b64 s[12:13], s[0:1], 0x0
	s_load_b256 s[4:11], s[0:1], 0x20
	s_load_b64 s[14:15], s[0:1], 0x40
	s_bfe_u32 s2, ttmp6, 0x4000c
	s_and_b32 s3, ttmp6, 15
	s_add_co_i32 s2, s2, 1
	s_getreg_b32 s18, hwreg(HW_REG_IB_STS2, 6, 4)
	s_mul_i32 s2, ttmp9, s2
	s_delay_alu instid0(SALU_CYCLE_1)
	s_add_co_i32 s3, s3, s2
	s_cmp_eq_u32 s18, 0
	s_cselect_b32 s16, ttmp9, s3
	s_mov_b32 s3, 0
	s_ashr_i32 s17, s16, 31
	s_wait_kmcnt 0x0
	v_cmp_gt_i32_e64 s2, s12, v0
	v_xad_u32 v4, v0, -1, s12
	s_and_saveexec_b32 s19, s2
	s_cbranch_execz .LBB4_17
; %bb.1:
	s_clause 0x1
	s_load_b128 s[24:27], s[0:1], 0x8
	s_load_b32 s20, s[0:1], 0x18
	s_mul_u64 s[4:5], s[4:5], s[16:17]
	s_sub_co_i32 s21, 1, s12
	s_lshl_b64 s[4:5], s[4:5], 2
                                        ; implicit-def: $vgpr1
                                        ; implicit-def: $vgpr2
	s_wait_kmcnt 0x0
	s_lshl_b64 s[22:23], s[26:27], 2
	s_add_nc_u64 s[4:5], s[24:25], s[4:5]
	s_mul_i32 s21, s20, s21
	s_cmp_lt_i32 s20, 1
	s_add_nc_u64 s[4:5], s[4:5], s[22:23]
	s_cselect_b32 s21, s21, 0
	s_mov_b32 s24, -1
	s_mov_b32 s22, exec_lo
	v_cmpx_lt_u32_e32 0x63ff, v4
	s_xor_b32 s22, exec_lo, s22
	s_cbranch_execnz .LBB4_4
; %bb.2:
	s_and_not1_saveexec_b32 s22, s22
	s_cbranch_execnz .LBB4_14
.LBB4_3:
	s_or_b32 exec_lo, exec_lo, s22
	s_delay_alu instid0(SALU_CYCLE_1)
	s_and_b32 exec_lo, exec_lo, s3
	s_cbranch_execnz .LBB4_15
	s_branch .LBB4_17
.LBB4_4:
	s_lshl_b32 s23, s20, 10
	v_mad_u32 v1, v0, s20, s21
	s_sub_co_i32 s3, 0, s23
	s_cmp_lt_i32 s23, 0
	v_lshrrev_b32_e32 v5, 10, v4
	s_cselect_b32 vcc_lo, -1, 0
	s_delay_alu instid0(SALU_CYCLE_1)
	s_and_b32 s25, vcc_lo, exec_lo
	s_cselect_b32 s25, s3, s23
	s_delay_alu instid0(VALU_DEP_1) | instid1(SALU_CYCLE_1)
	v_mul_lo_u32 v2, s25, v5
	s_delay_alu instid0(VALU_DEP_1) | instskip(NEXT) | instid1(VALU_DEP_1)
	v_sub_nc_u32_e32 v3, v1, v2
	v_cmp_gt_i32_e64 s3, v3, v1
	s_delay_alu instid0(VALU_DEP_1) | instskip(SKIP_1) | instid1(VALU_DEP_1)
	v_cndmask_b32_e64 v3, 0, 1, s3
	v_add_nc_u32_e32 v2, v1, v2
	v_cmp_lt_i32_e64 s3, v2, v1
	v_mul_hi_u32 v2, s25, v5
	s_delay_alu instid0(VALU_DEP_2) | instskip(NEXT) | instid1(VALU_DEP_1)
	v_cndmask_b32_e64 v1, 0, 1, s3
	v_cndmask_b32_e32 v1, v1, v3, vcc_lo
	s_delay_alu instid0(VALU_DEP_3) | instskip(NEXT) | instid1(VALU_DEP_2)
	v_cmp_eq_u32_e64 s3, 0, v2
	v_and_b32_e32 v1, 1, v1
	s_delay_alu instid0(VALU_DEP_1) | instskip(SKIP_2) | instid1(SALU_CYCLE_1)
	v_cmp_eq_u32_e32 vcc_lo, 1, v1
	v_mov_b32_e32 v1, v0
	s_xor_b32 s25, vcc_lo, -1
	s_and_b32 s25, s25, s3
	s_delay_alu instid0(SALU_CYCLE_1)
	s_and_saveexec_b32 s3, s25
	s_cbranch_execz .LBB4_13
; %bb.5:
	v_dual_mov_b32 v9, 0 :: v_dual_add_nc_u32 v2, -1, v5
	v_or_b32_e32 v1, 0x400, v0
	s_delay_alu instid0(VALU_DEP_2) | instskip(SKIP_1) | instid1(VALU_DEP_2)
	v_lshrrev_b32_e32 v3, 1, v2
	v_cmp_lt_u32_e32 vcc_lo, 5, v2
	v_add_nc_u32_e32 v6, 1, v3
	s_delay_alu instid0(VALU_DEP_4)
	v_mov_b64_e32 v[2:3], v[0:1]
	s_and_saveexec_b32 s24, vcc_lo
	s_cbranch_execz .LBB4_9
; %bb.6:
	v_mov_b64_e32 v[2:3], v[0:1]
	v_dual_lshlrev_b32 v8, 2, v0 :: v_dual_bitop2_b32 v7, -4, v6 bitop3:0x40
	s_mov_b32 s25, 0
	s_mov_b32 s26, 0
.LBB4_7:                                ; =>This Inner Loop Header: Depth=1
	s_delay_alu instid0(VALU_DEP_2)
	v_add_nc_u32_e32 v11, 0x1800, v3
	v_add_nc_u32_e32 v12, 0x1000, v3
	;; [unrolled: 1-line block ×3, first 2 shown]
	v_mad_u32 v9, v2, s20, s21
	s_add_co_i32 s26, s26, 8
	v_add_nc_u32_e32 v10, 0x800, v2
	v_add_nc_u32_e32 v14, 0x1000, v2
	v_mad_u32 v11, v11, s20, s21
	v_add_nc_u32_e32 v15, 0x1800, v2
	v_mad_u32 v12, v12, s20, s21
	v_mad_u32 v13, v13, s20, s21
	;; [unrolled: 1-line block ×6, first 2 shown]
	s_clause 0x7
	global_load_b32 v16, v9, s[4:5] scale_offset
	global_load_b32 v17, v11, s[4:5] scale_offset
	;; [unrolled: 1-line block ×8, first 2 shown]
	v_add_nc_u32_e32 v7, -4, v7
	v_add_nc_u32_e32 v3, 0x2000, v3
	s_wait_xcnt 0x7
	v_dual_mov_b32 v9, s26 :: v_dual_add_nc_u32 v2, 0x2000, v2
	s_wait_loadcnt 0x3
	ds_store_2addr_stride64_b32 v8, v16, v20 offset1:16
	s_wait_loadcnt 0x2
	ds_store_2addr_stride64_b32 v8, v21, v19 offset0:32 offset1:48
	s_wait_loadcnt 0x1
	ds_store_2addr_stride64_b32 v8, v22, v18 offset0:64 offset1:80
	;; [unrolled: 2-line block ×3, first 2 shown]
	v_cmp_eq_u32_e32 vcc_lo, 0, v7
	v_add_nc_u32_e32 v8, 0x8000, v8
	s_or_b32 s25, vcc_lo, s25
	s_wait_xcnt 0x0
	s_and_not1_b32 exec_lo, exec_lo, s25
	s_cbranch_execnz .LBB4_7
; %bb.8:
	s_or_b32 exec_lo, exec_lo, s25
.LBB4_9:
	s_delay_alu instid0(SALU_CYCLE_1) | instskip(SKIP_3) | instid1(VALU_DEP_1)
	s_or_b32 exec_lo, exec_lo, s24
	v_and_b32_e32 v1, 3, v6
	s_mov_b32 s25, 0
	s_mov_b32 s24, exec_lo
	v_cmpx_ne_u32_e32 0, v1
	s_cbranch_execz .LBB4_12
; %bb.10:
	v_lshlrev_b32_e32 v6, 2, v0
	s_delay_alu instid0(VALU_DEP_1)
	v_lshl_or_b32 v6, v9, 12, v6
.LBB4_11:                               ; =>This Inner Loop Header: Depth=1
	v_mad_u32 v7, v2, s20, s21
	v_mad_u32 v8, v3, s20, s21
	v_add_nc_u32_e32 v1, -1, v1
	v_add_nc_u32_e32 v3, 0x800, v3
	v_add_nc_u32_e32 v2, 0x800, v2
	s_clause 0x1
	global_load_b32 v9, v7, s[4:5] scale_offset
	global_load_b32 v10, v8, s[4:5] scale_offset
	v_cmp_eq_u32_e32 vcc_lo, 0, v1
	s_or_b32 s25, vcc_lo, s25
	s_wait_loadcnt 0x0
	ds_store_2addr_stride64_b32 v6, v9, v10 offset1:16
	v_add_nc_u32_e32 v6, 0x2000, v6
	s_and_not1_b32 exec_lo, exec_lo, s25
	s_cbranch_execnz .LBB4_11
.LBB4_12:
	s_or_b32 exec_lo, exec_lo, s24
	v_add_nc_u32_e32 v1, 1, v5
	s_delay_alu instid0(VALU_DEP_1) | instskip(NEXT) | instid1(VALU_DEP_1)
	v_and_b32_e32 v2, 0x7ffffe, v1
	v_cmp_ne_u32_e32 vcc_lo, v1, v2
	v_lshl_or_b32 v1, v2, 10, v0
	s_or_not1_b32 s24, vcc_lo, exec_lo
.LBB4_13:
	s_or_b32 exec_lo, exec_lo, s3
	v_mov_b32_e32 v2, s23
	s_and_b32 s3, s24, exec_lo
	s_and_not1_saveexec_b32 s22, s22
	s_cbranch_execz .LBB4_3
.LBB4_14:
	s_lshl_b32 s23, s20, 10
	s_or_b32 s3, s3, exec_lo
	v_dual_mov_b32 v2, s23 :: v_dual_mov_b32 v1, v0
	s_or_b32 exec_lo, exec_lo, s22
	s_delay_alu instid0(SALU_CYCLE_1)
	s_and_b32 exec_lo, exec_lo, s3
	s_cbranch_execz .LBB4_17
.LBB4_15:
	s_delay_alu instid0(VALU_DEP_1)
	v_mad_u32 v3, v1, s20, s21
	v_lshlrev_b32_e32 v5, 2, v1
	s_mov_b32 s3, 0
.LBB4_16:                               ; =>This Inner Loop Header: Depth=1
	global_load_b32 v6, v3, s[4:5] scale_offset
	v_add_nc_u32_e32 v1, 0x400, v1
	s_wait_xcnt 0x0
	v_add_nc_u32_e32 v3, v3, v2
	s_delay_alu instid0(VALU_DEP_2)
	v_cmp_le_i32_e32 vcc_lo, s12, v1
	s_or_b32 s3, vcc_lo, s3
	s_wait_loadcnt 0x0
	ds_store_b32 v5, v6
	v_add_nc_u32_e32 v5, 0x1000, v5
	s_and_not1_b32 exec_lo, exec_lo, s3
	s_cbranch_execnz .LBB4_16
.LBB4_17:
	s_or_b32 exec_lo, exec_lo, s19
	s_bfe_u32 s3, ttmp6, 0x40010
	s_bfe_u32 s4, ttmp6, 0x40004
	s_add_co_i32 s3, s3, 1
	s_wait_dscnt 0x0
	s_mul_i32 s3, ttmp7, s3
	s_barrier_signal -1
	s_add_co_i32 s4, s4, s3
	s_cmp_eq_u32 s18, 0
	s_barrier_wait -1
	s_cselect_b32 s24, ttmp7, s4
	s_delay_alu instid0(SALU_CYCLE_1)
	s_cmp_ge_i32 s24, s13
	s_cbranch_scc1 .LBB4_55
; %bb.18:
	s_clause 0x1
	s_load_b64 s[18:19], s[0:1], 0x50
	s_load_b32 s25, s[0:1], 0x48
	v_lshrrev_b32_e32 v1, 10, v4
	s_mul_u64 s[4:5], s[8:9], s[16:17]
	v_dual_lshrrev_b32 v14, 3, v0 :: v_dual_bitop2_b32 v2, 31, v0 bitop3:0x40
	s_lshl_b64 s[4:5], s[4:5], 2
	s_delay_alu instid0(VALU_DEP_2)
	v_add_nc_u32_e32 v6, 1, v1
	s_lshl_b64 s[20:21], s[14:15], 2
	s_add_nc_u64 s[14:15], s[6:7], s[4:5]
	v_cmp_eq_u32_e64 s4, 0, v2
	s_wait_xcnt 0x0
	v_cmp_lt_u32_e64 s1, 0x1bff, v4
	v_dual_add_nc_u32 v5, -1, v1 :: v_dual_bitop2_b32 v8, 7, v6 bitop3:0x40
	v_cmp_lt_u32_e64 s3, 0x3ff, v4
	v_mbcnt_lo_u32_b32 v18, -1, 0
	v_mov_b32_e32 v3, 0
	v_cmp_eq_u32_e64 s0, 0, v0
	v_lshrrev_b32_e32 v1, 1, v5
	v_cmp_ne_u32_e64 s5, 0, v8
	s_wait_kmcnt 0x0
	s_mul_u64 s[6:7], s[18:19], s[16:17]
	v_lshl_or_b32 v19, v18, 2, 64
	s_lshl_b64 s[18:19], s[6:7], 2
	v_add_nc_u32_e32 v2, 1, v1
	s_add_nc_u64 s[6:7], s[10:11], s[18:19]
	s_add_nc_u64 s[18:19], s[18:19], s[20:21]
	;; [unrolled: 1-line block ×3, first 2 shown]
	v_cmp_lt_u32_e64 s6, 5, v5
	v_and_b32_e32 v16, 3, v2
	v_and_b32_e32 v7, 0x7ffffe, v6
	v_dual_lshlrev_b32 v4, 2, v0 :: v_dual_bitop2_b32 v17, -4, v2 bitop3:0x40
	v_dual_mov_b32 v5, v3 :: v_dual_mov_b32 v20, 0x2004
	s_add_nc_u64 s[10:11], s[10:11], s[18:19]
	s_delay_alu instid0(VALU_DEP_3) | instskip(SKIP_1) | instid1(VALU_DEP_3)
	v_lshl_or_b32 v15, v7, 10, v0
	v_cmp_ne_u32_e64 s8, v6, v7
	v_add_nc_u64_e32 v[6:7], s[10:11], v[4:5]
	v_or_b32_e32 v1, 0x400, v0
	v_cmp_ne_u32_e64 s7, 0, v16
	v_dual_mov_b32 v22, 0x2014 :: v_dual_lshlrev_b32 v5, 2, v8
	v_mov_b32_e32 v21, 0x200c
	v_mov_b32_e32 v23, 0x201c
	;; [unrolled: 1-line block ×13, first 2 shown]
	s_cmp_gt_i32 s12, 1
	s_mul_i32 s18, s24, s25
	s_cselect_b32 s9, -1, 0
	s_lshl_b32 s26, s25, 6
	s_add_nc_u64 s[20:21], s[10:11], 0x7000
	s_branch .LBB4_20
.LBB4_19:                               ;   in Loop: Header=BB4_20 Depth=1
	s_or_b32 exec_lo, exec_lo, s19
	s_add_co_i32 s24, s24, 64
	s_add_co_i32 s18, s18, s26
	s_cmp_ge_i32 s24, s13
	s_cbranch_scc1 .LBB4_55
.LBB4_20:                               ; =>This Loop Header: Depth=1
                                        ;     Child Loop BB4_23 Depth 2
                                        ;     Child Loop BB4_27 Depth 2
	;; [unrolled: 1-line block ×5, first 2 shown]
	v_mov_b32_e32 v10, 0
	s_ashr_i32 s19, s18, 31
	s_delay_alu instid0(SALU_CYCLE_1)
	s_lshl_b64 s[22:23], s[18:19], 2
	s_and_saveexec_b32 s19, s2
	s_cbranch_execz .LBB4_30
; %bb.21:                               ;   in Loop: Header=BB4_20 Depth=1
	v_dual_mov_b32 v10, 0 :: v_dual_mov_b32 v2, v0
	s_and_saveexec_b32 s27, s5
	s_cbranch_execz .LBB4_25
; %bb.22:                               ;   in Loop: Header=BB4_20 Depth=1
	v_add_nc_u64_e32 v[8:9], s[22:23], v[6:7]
	v_dual_mov_b32 v10, 0 :: v_dual_mov_b32 v11, v5
	v_dual_mov_b32 v12, v4 :: v_dual_mov_b32 v2, v0
	s_mov_b32 s28, 0
.LBB4_23:                               ;   Parent Loop BB4_20 Depth=1
                                        ; =>  This Inner Loop Header: Depth=2
	global_load_b32 v13, v[8:9], off
	ds_load_b32 v35, v12
	v_add_nc_u32_e32 v11, -4, v11
	s_wait_xcnt 0x0
	v_add_nc_u64_e32 v[8:9], 0x1000, v[8:9]
	v_add_nc_u32_e32 v2, 0x400, v2
	v_add_nc_u32_e32 v12, 0x1000, v12
	s_wait_loadcnt_dscnt 0x0
	v_fmac_f32_e32 v10, v35, v13
	v_cmp_eq_u32_e32 vcc_lo, 0, v11
	s_or_b32 s28, vcc_lo, s28
	s_delay_alu instid0(SALU_CYCLE_1)
	s_and_not1_b32 exec_lo, exec_lo, s28
	s_cbranch_execnz .LBB4_23
; %bb.24:                               ;   in Loop: Header=BB4_20 Depth=1
	s_or_b32 exec_lo, exec_lo, s28
.LBB4_25:                               ;   in Loop: Header=BB4_20 Depth=1
	s_delay_alu instid0(SALU_CYCLE_1)
	s_or_b32 exec_lo, exec_lo, s27
	s_and_saveexec_b32 s27, s1
	s_cbranch_execz .LBB4_29
; %bb.26:                               ;   in Loop: Header=BB4_20 Depth=1
	s_add_nc_u64 s[28:29], s[20:21], s[22:23]
	v_lshlrev_b32_e32 v11, 2, v2
	v_lshl_add_u64 v[8:9], v[2:3], 2, s[28:29]
	s_mov_b32 s28, 0
.LBB4_27:                               ;   Parent Loop BB4_20 Depth=1
                                        ; =>  This Inner Loop Header: Depth=2
	s_clause 0x7
	global_load_b32 v35, v[8:9], off offset:-28672
	global_load_b32 v40, v[8:9], off offset:-24576
	;; [unrolled: 1-line block ×7, first 2 shown]
	global_load_b32 v46, v[8:9], off
	ds_load_2addr_stride64_b32 v[12:13], v11 offset1:16
	ds_load_2addr_stride64_b32 v[36:37], v11 offset0:32 offset1:48
	ds_load_2addr_stride64_b32 v[38:39], v11 offset0:64 offset1:80
	v_add_nc_u32_e32 v2, 0x2000, v2
	s_wait_xcnt 0x0
	v_add_nc_u64_e32 v[8:9], 0x8000, v[8:9]
	s_delay_alu instid0(VALU_DEP_2) | instskip(SKIP_4) | instid1(VALU_DEP_1)
	v_cmp_le_i32_e32 vcc_lo, s12, v2
	s_or_b32 s28, vcc_lo, s28
	s_wait_loadcnt_dscnt 0x702
	v_fmac_f32_e32 v10, v12, v35
	s_wait_loadcnt 0x6
	v_fmac_f32_e32 v10, v13, v40
	ds_load_2addr_stride64_b32 v[12:13], v11 offset0:96 offset1:112
	s_wait_loadcnt_dscnt 0x502
	v_dual_fmac_f32 v10, v36, v41 :: v_dual_add_nc_u32 v11, 0x8000, v11
	s_wait_loadcnt 0x4
	s_delay_alu instid0(VALU_DEP_1) | instskip(SKIP_1) | instid1(VALU_DEP_1)
	v_fmac_f32_e32 v10, v37, v42
	s_wait_loadcnt_dscnt 0x301
	v_fmac_f32_e32 v10, v38, v43
	s_wait_loadcnt 0x2
	s_delay_alu instid0(VALU_DEP_1) | instskip(SKIP_1) | instid1(VALU_DEP_1)
	v_fmac_f32_e32 v10, v39, v44
	s_wait_loadcnt_dscnt 0x100
	v_fmac_f32_e32 v10, v12, v45
	s_wait_loadcnt 0x0
	s_delay_alu instid0(VALU_DEP_1)
	v_fmac_f32_e32 v10, v13, v46
	s_and_not1_b32 exec_lo, exec_lo, s28
	s_cbranch_execnz .LBB4_27
; %bb.28:                               ;   in Loop: Header=BB4_20 Depth=1
	s_or_b32 exec_lo, exec_lo, s28
.LBB4_29:                               ;   in Loop: Header=BB4_20 Depth=1
	s_delay_alu instid0(SALU_CYCLE_1)
	s_or_b32 exec_lo, exec_lo, s27
.LBB4_30:                               ;   in Loop: Header=BB4_20 Depth=1
	s_delay_alu instid0(SALU_CYCLE_1) | instskip(NEXT) | instid1(SALU_CYCLE_1)
	s_or_b32 exec_lo, exec_lo, s19
	s_and_b32 vcc_lo, exec_lo, s9
	s_cbranch_vccz .LBB4_37
; %bb.31:                               ;   in Loop: Header=BB4_20 Depth=1
	v_cmp_ne_u32_e32 vcc_lo, 31, v18
	v_add_co_ci_u32_e64 v2, null, 0, v18, vcc_lo
	v_cmp_gt_u32_e32 vcc_lo, 30, v18
	s_delay_alu instid0(VALU_DEP_2)
	v_lshlrev_b32_e32 v2, 2, v2
	v_cndmask_b32_e64 v8, 0, 2, vcc_lo
	v_cmp_gt_u32_e32 vcc_lo, 28, v18
	ds_bpermute_b32 v2, v2, v10
	v_add_lshl_u32 v8, v8, v18, 2
	v_cndmask_b32_e64 v9, 0, 4, vcc_lo
	v_cmp_gt_u32_e32 vcc_lo, 24, v18
	s_delay_alu instid0(VALU_DEP_2)
	v_add_lshl_u32 v9, v9, v18, 2
	s_wait_dscnt 0x0
	v_add_f32_e32 v2, v10, v2
	ds_bpermute_b32 v8, v8, v2
	s_wait_dscnt 0x0
	v_add_f32_e32 v2, v2, v8
	ds_bpermute_b32 v8, v9, v2
	v_cndmask_b32_e64 v9, 0, 8, vcc_lo
	s_wait_dscnt 0x0
	v_add_f32_e32 v2, v2, v8
	s_delay_alu instid0(VALU_DEP_2)
	v_add_lshl_u32 v8, v9, v18, 2
	ds_bpermute_b32 v8, v8, v2
	s_wait_dscnt 0x0
	v_add_f32_e32 v2, v2, v8
	ds_bpermute_b32 v8, v19, v2
	s_wait_dscnt 0x0
	v_add_f32_e32 v2, v2, v8
	s_and_saveexec_b32 s19, s4
; %bb.32:                               ;   in Loop: Header=BB4_20 Depth=1
	ds_store_b32 v14, v2 offset:8192
; %bb.33:                               ;   in Loop: Header=BB4_20 Depth=1
	s_or_b32 exec_lo, exec_lo, s19
	s_mov_b32 s27, 0
	s_mov_b32 s19, 0
	s_wait_dscnt 0x0
	s_barrier_signal -1
	s_barrier_wait -1
                                        ; implicit-def: $vgpr8
	s_and_saveexec_b32 s28, s0
	s_delay_alu instid0(SALU_CYCLE_1)
	s_xor_b32 s28, exec_lo, s28
	s_cbranch_execz .LBB4_35
; %bb.34:                               ;   in Loop: Header=BB4_20 Depth=1
	ds_load_2addr_b32 v[8:9], v20 offset1:1
	ds_load_2addr_b32 v[12:13], v21 offset1:1
	;; [unrolled: 1-line block ×4, first 2 shown]
	s_mov_b32 s19, exec_lo
	s_wait_dscnt 0x3
	v_add_f32_e32 v2, v2, v8
	s_delay_alu instid0(VALU_DEP_1) | instskip(SKIP_3) | instid1(VALU_DEP_1)
	v_add_f32_e32 v2, v2, v9
	ds_load_2addr_b32 v[8:9], v24 offset1:1
	s_wait_dscnt 0x3
	v_add_f32_e32 v2, v2, v12
	v_add_f32_e32 v2, v2, v13
	ds_load_2addr_b32 v[12:13], v25 offset1:1
	s_wait_dscnt 0x3
	v_add_f32_e32 v2, v2, v36
	s_delay_alu instid0(VALU_DEP_1) | instskip(SKIP_1) | instid1(VALU_DEP_1)
	v_add_f32_e32 v2, v2, v37
	s_wait_dscnt 0x2
	v_add_f32_e32 v2, v2, v38
	s_delay_alu instid0(VALU_DEP_1) | instskip(SKIP_4) | instid1(VALU_DEP_1)
	v_add_f32_e32 v2, v2, v39
	ds_load_2addr_b32 v[36:37], v26 offset1:1
	ds_load_2addr_b32 v[38:39], v27 offset1:1
	s_wait_dscnt 0x3
	v_add_f32_e32 v2, v2, v8
	v_add_f32_e32 v2, v2, v9
	ds_load_2addr_b32 v[8:9], v28 offset1:1
	s_wait_dscnt 0x3
	v_add_f32_e32 v2, v2, v12
	s_delay_alu instid0(VALU_DEP_1) | instskip(SKIP_3) | instid1(VALU_DEP_1)
	v_add_f32_e32 v2, v2, v13
	ds_load_2addr_b32 v[12:13], v29 offset1:1
	s_wait_dscnt 0x3
	v_add_f32_e32 v2, v2, v36
	v_add_f32_e32 v2, v2, v37
	s_wait_dscnt 0x2
	s_delay_alu instid0(VALU_DEP_1) | instskip(NEXT) | instid1(VALU_DEP_1)
	v_add_f32_e32 v2, v2, v38
	v_add_f32_e32 v2, v2, v39
	ds_load_2addr_b32 v[36:37], v30 offset1:1
	ds_load_2addr_b32 v[38:39], v31 offset1:1
	s_wait_dscnt 0x3
	v_add_f32_e32 v2, v2, v8
	s_delay_alu instid0(VALU_DEP_1) | instskip(SKIP_3) | instid1(VALU_DEP_1)
	v_add_f32_e32 v2, v2, v9
	ds_load_2addr_b32 v[8:9], v32 offset1:1
	s_wait_dscnt 0x3
	v_add_f32_e32 v2, v2, v12
	v_add_f32_e32 v2, v2, v13
	ds_load_2addr_b32 v[12:13], v33 offset1:1
	s_wait_dscnt 0x3
	v_add_f32_e32 v2, v2, v36
	s_delay_alu instid0(VALU_DEP_1) | instskip(SKIP_4) | instid1(VALU_DEP_1)
	v_add_f32_e32 v2, v2, v37
	ds_load_2addr_b32 v[36:37], v34 offset1:1
	ds_load_b32 v11, v3 offset:8316
	s_wait_dscnt 0x4
	v_add_f32_e32 v2, v2, v38
	v_add_f32_e32 v2, v2, v39
	s_wait_dscnt 0x3
	s_delay_alu instid0(VALU_DEP_1) | instskip(NEXT) | instid1(VALU_DEP_1)
	v_add_f32_e32 v2, v2, v8
	v_add_f32_e32 v2, v2, v9
	s_wait_dscnt 0x2
	s_delay_alu instid0(VALU_DEP_1) | instskip(NEXT) | instid1(VALU_DEP_1)
	;; [unrolled: 4-line block ×3, first 2 shown]
	v_add_f32_e32 v2, v2, v36
	v_add_f32_e32 v2, v2, v37
	s_wait_dscnt 0x0
	s_delay_alu instid0(VALU_DEP_1)
	v_add_f32_e32 v8, v2, v11
.LBB4_35:                               ;   in Loop: Header=BB4_20 Depth=1
	s_or_b32 exec_lo, exec_lo, s28
	s_delay_alu instid0(SALU_CYCLE_1)
	s_and_b32 vcc_lo, exec_lo, s27
	s_cbranch_vccnz .LBB4_38
.LBB4_36:                               ;   in Loop: Header=BB4_20 Depth=1
	s_delay_alu instid0(VALU_DEP_1)
	v_mov_b32_e32 v10, v8
	s_and_saveexec_b32 s27, s19
	s_cbranch_execnz .LBB4_39
	s_branch .LBB4_40
.LBB4_37:                               ;   in Loop: Header=BB4_20 Depth=1
	s_mov_b32 s19, 0
                                        ; implicit-def: $vgpr8
	s_cbranch_execz .LBB4_36
.LBB4_38:                               ;   in Loop: Header=BB4_20 Depth=1
	s_and_not1_b32 s19, s19, exec_lo
	s_and_b32 s27, s0, exec_lo
	s_delay_alu instid0(SALU_CYCLE_1) | instskip(NEXT) | instid1(SALU_CYCLE_1)
	s_or_b32 s19, s19, s27
	s_and_saveexec_b32 s27, s19
.LBB4_39:                               ;   in Loop: Header=BB4_20 Depth=1
	ds_store_b32 v3, v10 offset:8192
.LBB4_40:                               ;   in Loop: Header=BB4_20 Depth=1
	s_or_b32 exec_lo, exec_lo, s27
	s_wait_dscnt 0x0
	s_barrier_signal -1
	s_barrier_wait -1
	s_and_saveexec_b32 s19, s2
	s_cbranch_execz .LBB4_19
; %bb.41:                               ;   in Loop: Header=BB4_20 Depth=1
	global_load_b32 v2, v3, s[14:15]
	ds_load_b32 v8, v3 offset:8192
	v_mov_b32_e32 v10, v0
	s_mov_b32 s28, -1
	s_wait_loadcnt 0x0
	v_xor_b32_e32 v2, 0x80000000, v2
	s_wait_dscnt 0x0
	s_delay_alu instid0(VALU_DEP_1)
	v_mul_f32_e32 v8, v8, v2
	v_mov_b32_e32 v2, v4
	s_wait_xcnt 0x0
	s_and_saveexec_b32 s27, s3
	s_cbranch_execz .LBB4_52
; %bb.42:                               ;   in Loop: Header=BB4_20 Depth=1
	v_mov_b64_e32 v[10:11], v[0:1]
	v_dual_mov_b32 v9, v8 :: v_dual_mov_b32 v13, 0
	s_mul_i32 s28, s24, s25
	s_and_saveexec_b32 s29, s6
	s_cbranch_execz .LBB4_46
; %bb.43:                               ;   in Loop: Header=BB4_20 Depth=1
	v_mov_b64_e32 v[10:11], v[0:1]
	v_dual_mov_b32 v2, v17 :: v_dual_mov_b32 v12, v4
	s_add_co_i32 s30, s28, 0x800
	s_add_co_i32 s31, s28, 0x1000
	;; [unrolled: 1-line block ×3, first 2 shown]
	s_mov_b32 s33, s30
	s_mov_b32 s34, s31
	;; [unrolled: 1-line block ×5, first 2 shown]
.LBB4_44:                               ;   Parent Loop BB4_20 Depth=1
                                        ; =>  This Inner Loop Header: Depth=2
	v_dual_add_nc_u32 v13, s28, v10 :: v_dual_add_nc_u32 v35, s28, v11
	v_dual_add_nc_u32 v40, s33, v11 :: v_dual_add_nc_u32 v41, s30, v10
	s_add_co_i32 s38, s38, 8
	s_clause 0x1
	global_load_b32 v36, v13, s[16:17] scale_offset
	global_load_b32 v37, v35, s[16:17] scale_offset
	ds_load_2addr_stride64_b32 v[38:39], v12 offset1:16
	v_add_nc_u32_e32 v2, -4, v2
	s_wait_loadcnt_dscnt 0x0
	v_pk_fma_f32 v[36:37], v[8:9], v[38:39], v[36:37]
	s_clause 0x3
	global_store_b32 v13, v36, s[16:17] scale_offset
	global_store_b32 v35, v37, s[16:17] scale_offset
	global_load_b32 v36, v41, s[16:17] scale_offset
	global_load_b32 v37, v40, s[16:17] scale_offset
	ds_load_2addr_stride64_b32 v[38:39], v12 offset0:32 offset1:48
	v_dual_add_nc_u32 v13, s34, v11 :: v_dual_add_nc_u32 v35, s31, v10
	s_wait_loadcnt_dscnt 0x0
	v_pk_fma_f32 v[36:37], v[8:9], v[38:39], v[36:37]
	s_clause 0x3
	global_store_b32 v41, v36, s[16:17] scale_offset
	global_store_b32 v40, v37, s[16:17] scale_offset
	global_load_b32 v36, v35, s[16:17] scale_offset
	global_load_b32 v37, v13, s[16:17] scale_offset
	ds_load_2addr_stride64_b32 v[38:39], v12 offset0:64 offset1:80
	v_dual_add_nc_u32 v40, s35, v10 :: v_dual_add_nc_u32 v41, s37, v11
	v_add_nc_u32_e32 v11, 0x2000, v11
	v_add_nc_u32_e32 v10, 0x2000, v10
	s_wait_loadcnt_dscnt 0x0
	v_pk_fma_f32 v[36:37], v[8:9], v[38:39], v[36:37]
	s_clause 0x3
	global_store_b32 v35, v36, s[16:17] scale_offset
	global_store_b32 v13, v37, s[16:17] scale_offset
	global_load_b32 v36, v40, s[16:17] scale_offset
	global_load_b32 v37, v41, s[16:17] scale_offset
	ds_load_2addr_stride64_b32 v[38:39], v12 offset0:96 offset1:112
	v_mov_b32_e32 v13, s38
	v_cmp_eq_u32_e32 vcc_lo, 0, v2
	v_add_nc_u32_e32 v12, 0x8000, v12
	s_or_b32 s36, vcc_lo, s36
	s_wait_loadcnt_dscnt 0x0
	v_pk_fma_f32 v[36:37], v[8:9], v[38:39], v[36:37]
	s_clause 0x1
	global_store_b32 v40, v36, s[16:17] scale_offset
	global_store_b32 v41, v37, s[16:17] scale_offset
	s_wait_xcnt 0x0
	s_and_not1_b32 exec_lo, exec_lo, s36
	s_cbranch_execnz .LBB4_44
; %bb.45:                               ;   in Loop: Header=BB4_20 Depth=1
	s_or_b32 exec_lo, exec_lo, s36
.LBB4_46:                               ;   in Loop: Header=BB4_20 Depth=1
	s_delay_alu instid0(SALU_CYCLE_1)
	s_or_b32 exec_lo, exec_lo, s29
	s_and_saveexec_b32 s29, s7
	s_cbranch_execz .LBB4_49
; %bb.47:                               ;   in Loop: Header=BB4_20 Depth=1
	v_lshl_or_b32 v2, v13, 12, v4
	v_mov_b32_e32 v12, v16
	s_mov_b32 s30, 0
.LBB4_48:                               ;   Parent Loop BB4_20 Depth=1
                                        ; =>  This Inner Loop Header: Depth=2
	v_dual_add_nc_u32 v13, s28, v10 :: v_dual_add_nc_u32 v35, s28, v11
	s_delay_alu instid0(VALU_DEP_2)
	v_add_nc_u32_e32 v12, -1, v12
	v_add_nc_u32_e32 v11, 0x800, v11
	v_add_nc_u32_e32 v10, 0x800, v10
	s_clause 0x1
	global_load_b32 v36, v13, s[16:17] scale_offset
	global_load_b32 v37, v35, s[16:17] scale_offset
	ds_load_2addr_stride64_b32 v[38:39], v2 offset1:16
	v_cmp_eq_u32_e32 vcc_lo, 0, v12
	v_add_nc_u32_e32 v2, 0x2000, v2
	s_or_b32 s30, vcc_lo, s30
	s_wait_loadcnt_dscnt 0x0
	v_pk_fma_f32 v[36:37], v[8:9], v[38:39], v[36:37]
	s_clause 0x1
	global_store_b32 v13, v36, s[16:17] scale_offset
	global_store_b32 v35, v37, s[16:17] scale_offset
	s_wait_xcnt 0x0
	s_and_not1_b32 exec_lo, exec_lo, s30
	s_cbranch_execnz .LBB4_48
.LBB4_49:                               ;   in Loop: Header=BB4_20 Depth=1
	s_or_b32 exec_lo, exec_lo, s29
	s_mov_b32 s28, 0
                                        ; implicit-def: $vgpr2
	s_and_saveexec_b32 s29, s8
; %bb.50:                               ;   in Loop: Header=BB4_20 Depth=1
	v_lshlrev_b32_e32 v2, 2, v15
	s_mov_b32 s28, exec_lo
; %bb.51:                               ;   in Loop: Header=BB4_20 Depth=1
	s_or_b32 exec_lo, exec_lo, s29
	v_mov_b32_e32 v10, v15
	s_or_not1_b32 s28, s28, exec_lo
.LBB4_52:                               ;   in Loop: Header=BB4_20 Depth=1
	s_or_b32 exec_lo, exec_lo, s27
	s_delay_alu instid0(SALU_CYCLE_1)
	s_and_b32 exec_lo, exec_lo, s28
	s_cbranch_execz .LBB4_19
; %bb.53:                               ;   in Loop: Header=BB4_20 Depth=1
	v_ashrrev_i32_e32 v11, 31, v10
	s_add_nc_u64 s[22:23], s[10:11], s[22:23]
	s_delay_alu instid0(VALU_DEP_1) | instid1(SALU_CYCLE_1)
	v_lshl_add_u64 v[12:13], v[10:11], 2, s[22:23]
	s_mov_b32 s22, 0
.LBB4_54:                               ;   Parent Loop BB4_20 Depth=1
                                        ; =>  This Inner Loop Header: Depth=2
	global_load_b32 v9, v[12:13], off
	ds_load_b32 v11, v2
	v_add_nc_u32_e32 v10, 0x400, v10
	s_wait_loadcnt_dscnt 0x0
	v_dual_fmac_f32 v9, v8, v11 :: v_dual_add_nc_u32 v2, 0x1000, v2
	s_delay_alu instid0(VALU_DEP_2) | instskip(SKIP_4) | instid1(SALU_CYCLE_1)
	v_cmp_le_i32_e32 vcc_lo, s12, v10
	global_store_b32 v[12:13], v9, off
	s_wait_xcnt 0x0
	v_add_nc_u64_e32 v[12:13], 0x1000, v[12:13]
	s_or_b32 s22, vcc_lo, s22
	s_and_not1_b32 exec_lo, exec_lo, s22
	s_cbranch_execnz .LBB4_54
	s_branch .LBB4_19
.LBB4_55:
	s_endpgm
	.section	.rodata,"a",@progbits
	.p2align	6, 0x0
	.amdhsa_kernel _ZN9rocsolver6v33100L22larf_left_kernel_smallILi1024EfiPfEEvT1_S3_T2_lS3_lPKT0_lS4_lS3_l
		.amdhsa_group_segment_fixed_size 12288
		.amdhsa_private_segment_fixed_size 0
		.amdhsa_kernarg_size 88
		.amdhsa_user_sgpr_count 2
		.amdhsa_user_sgpr_dispatch_ptr 0
		.amdhsa_user_sgpr_queue_ptr 0
		.amdhsa_user_sgpr_kernarg_segment_ptr 1
		.amdhsa_user_sgpr_dispatch_id 0
		.amdhsa_user_sgpr_kernarg_preload_length 0
		.amdhsa_user_sgpr_kernarg_preload_offset 0
		.amdhsa_user_sgpr_private_segment_size 0
		.amdhsa_wavefront_size32 1
		.amdhsa_uses_dynamic_stack 0
		.amdhsa_enable_private_segment 0
		.amdhsa_system_sgpr_workgroup_id_x 1
		.amdhsa_system_sgpr_workgroup_id_y 1
		.amdhsa_system_sgpr_workgroup_id_z 0
		.amdhsa_system_sgpr_workgroup_info 0
		.amdhsa_system_vgpr_workitem_id 0
		.amdhsa_next_free_vgpr 47
		.amdhsa_next_free_sgpr 39
		.amdhsa_named_barrier_count 0
		.amdhsa_reserve_vcc 1
		.amdhsa_float_round_mode_32 0
		.amdhsa_float_round_mode_16_64 0
		.amdhsa_float_denorm_mode_32 3
		.amdhsa_float_denorm_mode_16_64 3
		.amdhsa_fp16_overflow 0
		.amdhsa_memory_ordered 1
		.amdhsa_forward_progress 1
		.amdhsa_inst_pref_size 29
		.amdhsa_round_robin_scheduling 0
		.amdhsa_exception_fp_ieee_invalid_op 0
		.amdhsa_exception_fp_denorm_src 0
		.amdhsa_exception_fp_ieee_div_zero 0
		.amdhsa_exception_fp_ieee_overflow 0
		.amdhsa_exception_fp_ieee_underflow 0
		.amdhsa_exception_fp_ieee_inexact 0
		.amdhsa_exception_int_div_zero 0
	.end_amdhsa_kernel
	.section	.text._ZN9rocsolver6v33100L22larf_left_kernel_smallILi1024EfiPfEEvT1_S3_T2_lS3_lPKT0_lS4_lS3_l,"axG",@progbits,_ZN9rocsolver6v33100L22larf_left_kernel_smallILi1024EfiPfEEvT1_S3_T2_lS3_lPKT0_lS4_lS3_l,comdat
.Lfunc_end4:
	.size	_ZN9rocsolver6v33100L22larf_left_kernel_smallILi1024EfiPfEEvT1_S3_T2_lS3_lPKT0_lS4_lS3_l, .Lfunc_end4-_ZN9rocsolver6v33100L22larf_left_kernel_smallILi1024EfiPfEEvT1_S3_T2_lS3_lPKT0_lS4_lS3_l
                                        ; -- End function
	.set _ZN9rocsolver6v33100L22larf_left_kernel_smallILi1024EfiPfEEvT1_S3_T2_lS3_lPKT0_lS4_lS3_l.num_vgpr, 47
	.set _ZN9rocsolver6v33100L22larf_left_kernel_smallILi1024EfiPfEEvT1_S3_T2_lS3_lPKT0_lS4_lS3_l.num_agpr, 0
	.set _ZN9rocsolver6v33100L22larf_left_kernel_smallILi1024EfiPfEEvT1_S3_T2_lS3_lPKT0_lS4_lS3_l.numbered_sgpr, 39
	.set _ZN9rocsolver6v33100L22larf_left_kernel_smallILi1024EfiPfEEvT1_S3_T2_lS3_lPKT0_lS4_lS3_l.num_named_barrier, 0
	.set _ZN9rocsolver6v33100L22larf_left_kernel_smallILi1024EfiPfEEvT1_S3_T2_lS3_lPKT0_lS4_lS3_l.private_seg_size, 0
	.set _ZN9rocsolver6v33100L22larf_left_kernel_smallILi1024EfiPfEEvT1_S3_T2_lS3_lPKT0_lS4_lS3_l.uses_vcc, 1
	.set _ZN9rocsolver6v33100L22larf_left_kernel_smallILi1024EfiPfEEvT1_S3_T2_lS3_lPKT0_lS4_lS3_l.uses_flat_scratch, 0
	.set _ZN9rocsolver6v33100L22larf_left_kernel_smallILi1024EfiPfEEvT1_S3_T2_lS3_lPKT0_lS4_lS3_l.has_dyn_sized_stack, 0
	.set _ZN9rocsolver6v33100L22larf_left_kernel_smallILi1024EfiPfEEvT1_S3_T2_lS3_lPKT0_lS4_lS3_l.has_recursion, 0
	.set _ZN9rocsolver6v33100L22larf_left_kernel_smallILi1024EfiPfEEvT1_S3_T2_lS3_lPKT0_lS4_lS3_l.has_indirect_call, 0
	.section	.AMDGPU.csdata,"",@progbits
; Kernel info:
; codeLenInByte = 3644
; TotalNumSgprs: 41
; NumVgprs: 47
; ScratchSize: 0
; MemoryBound: 0
; FloatMode: 240
; IeeeMode: 1
; LDSByteSize: 12288 bytes/workgroup (compile time only)
; SGPRBlocks: 0
; VGPRBlocks: 2
; NumSGPRsForWavesPerEU: 41
; NumVGPRsForWavesPerEU: 47
; NamedBarCnt: 0
; Occupancy: 16
; WaveLimiterHint : 1
; COMPUTE_PGM_RSRC2:SCRATCH_EN: 0
; COMPUTE_PGM_RSRC2:USER_SGPR: 2
; COMPUTE_PGM_RSRC2:TRAP_HANDLER: 0
; COMPUTE_PGM_RSRC2:TGID_X_EN: 1
; COMPUTE_PGM_RSRC2:TGID_Y_EN: 1
; COMPUTE_PGM_RSRC2:TGID_Z_EN: 0
; COMPUTE_PGM_RSRC2:TIDIG_COMP_CNT: 0
	.section	.text._ZN9rocsolver6v33100L23larf_right_kernel_smallILi64EfiPfEEvT1_S3_T2_lS3_lPKT0_lS4_lS3_l,"axG",@progbits,_ZN9rocsolver6v33100L23larf_right_kernel_smallILi64EfiPfEEvT1_S3_T2_lS3_lPKT0_lS4_lS3_l,comdat
	.globl	_ZN9rocsolver6v33100L23larf_right_kernel_smallILi64EfiPfEEvT1_S3_T2_lS3_lPKT0_lS4_lS3_l ; -- Begin function _ZN9rocsolver6v33100L23larf_right_kernel_smallILi64EfiPfEEvT1_S3_T2_lS3_lPKT0_lS4_lS3_l
	.p2align	8
	.type	_ZN9rocsolver6v33100L23larf_right_kernel_smallILi64EfiPfEEvT1_S3_T2_lS3_lPKT0_lS4_lS3_l,@function
_ZN9rocsolver6v33100L23larf_right_kernel_smallILi64EfiPfEEvT1_S3_T2_lS3_lPKT0_lS4_lS3_l: ; @_ZN9rocsolver6v33100L23larf_right_kernel_smallILi64EfiPfEEvT1_S3_T2_lS3_lPKT0_lS4_lS3_l
; %bb.0:
	s_clause 0x2
	s_load_b64 s[12:13], s[0:1], 0x0
	s_load_b256 s[4:11], s[0:1], 0x20
	s_load_b64 s[16:17], s[0:1], 0x40
	s_bfe_u32 s2, ttmp6, 0x4000c
	s_and_b32 s3, ttmp6, 15
	s_add_co_i32 s2, s2, 1
	s_getreg_b32 s18, hwreg(HW_REG_IB_STS2, 6, 4)
	s_mul_i32 s2, ttmp9, s2
	s_delay_alu instid0(SALU_CYCLE_1)
	s_add_co_i32 s3, s3, s2
	s_cmp_eq_u32 s18, 0
	s_cselect_b32 s14, ttmp9, s3
	s_mov_b32 s3, 0
	s_ashr_i32 s15, s14, 31
	s_wait_kmcnt 0x0
	v_cmp_gt_i32_e64 s2, s13, v0
	s_and_saveexec_b32 s19, s2
	s_cbranch_execz .LBB5_17
; %bb.1:
	s_clause 0x1
	s_load_b128 s[24:27], s[0:1], 0x8
	s_load_b32 s20, s[0:1], 0x18
	s_mul_u64 s[4:5], s[4:5], s[14:15]
	s_sub_co_i32 s21, 1, s13
	s_lshl_b64 s[4:5], s[4:5], 2
	v_xad_u32 v3, v0, -1, s13
                                        ; implicit-def: $vgpr1
                                        ; implicit-def: $vgpr2
	s_wait_kmcnt 0x0
	s_lshl_b64 s[22:23], s[26:27], 2
	s_add_nc_u64 s[4:5], s[24:25], s[4:5]
	s_mul_i32 s21, s20, s21
	s_cmp_lt_i32 s20, 1
	s_add_nc_u64 s[4:5], s[4:5], s[22:23]
	s_cselect_b32 s21, s21, 0
	s_mov_b32 s24, -1
	s_mov_b32 s22, exec_lo
	v_cmpx_lt_u32_e32 0x63f, v3
	s_xor_b32 s22, exec_lo, s22
	s_cbranch_execnz .LBB5_4
; %bb.2:
	s_and_not1_saveexec_b32 s22, s22
	s_cbranch_execnz .LBB5_14
.LBB5_3:
	s_or_b32 exec_lo, exec_lo, s22
	s_delay_alu instid0(SALU_CYCLE_1)
	s_and_b32 exec_lo, exec_lo, s3
	s_cbranch_execnz .LBB5_15
	s_branch .LBB5_17
.LBB5_4:
	s_lshl_b32 s23, s20, 6
	v_mad_u32 v1, v0, s20, s21
	s_sub_co_i32 s3, 0, s23
	s_cmp_lt_i32 s23, 0
	v_lshrrev_b32_e32 v4, 6, v3
	s_cselect_b32 vcc_lo, -1, 0
	s_delay_alu instid0(SALU_CYCLE_1)
	s_and_b32 s25, vcc_lo, exec_lo
	s_cselect_b32 s25, s3, s23
	s_delay_alu instid0(VALU_DEP_1) | instid1(SALU_CYCLE_1)
	v_mul_lo_u32 v2, s25, v4
	s_delay_alu instid0(VALU_DEP_1) | instskip(NEXT) | instid1(VALU_DEP_1)
	v_sub_nc_u32_e32 v3, v1, v2
	v_cmp_gt_i32_e64 s3, v3, v1
	s_delay_alu instid0(VALU_DEP_1) | instskip(SKIP_1) | instid1(VALU_DEP_1)
	v_cndmask_b32_e64 v3, 0, 1, s3
	v_add_nc_u32_e32 v2, v1, v2
	v_cmp_lt_i32_e64 s3, v2, v1
	v_mul_hi_u32 v2, s25, v4
	s_delay_alu instid0(VALU_DEP_2) | instskip(NEXT) | instid1(VALU_DEP_1)
	v_cndmask_b32_e64 v1, 0, 1, s3
	v_cndmask_b32_e32 v1, v1, v3, vcc_lo
	s_delay_alu instid0(VALU_DEP_3) | instskip(NEXT) | instid1(VALU_DEP_2)
	v_cmp_eq_u32_e64 s3, 0, v2
	v_and_b32_e32 v1, 1, v1
	s_delay_alu instid0(VALU_DEP_1) | instskip(SKIP_2) | instid1(SALU_CYCLE_1)
	v_cmp_eq_u32_e32 vcc_lo, 1, v1
	v_mov_b32_e32 v1, v0
	s_xor_b32 s25, vcc_lo, -1
	s_and_b32 s25, s25, s3
	s_delay_alu instid0(SALU_CYCLE_1)
	s_and_saveexec_b32 s3, s25
	s_cbranch_execz .LBB5_13
; %bb.5:
	v_dual_add_nc_u32 v2, -1, v4 :: v_dual_mov_b32 v8, 0
	s_delay_alu instid0(VALU_DEP_1) | instskip(SKIP_1) | instid1(VALU_DEP_2)
	v_dual_lshrrev_b32 v3, 1, v2 :: v_dual_bitop2_b32 v1, 64, v0 bitop3:0x54
	v_cmp_lt_u32_e32 vcc_lo, 5, v2
	v_add_nc_u32_e32 v5, 1, v3
	s_delay_alu instid0(VALU_DEP_3)
	v_mov_b64_e32 v[2:3], v[0:1]
	s_and_saveexec_b32 s24, vcc_lo
	s_cbranch_execz .LBB5_9
; %bb.6:
	v_mov_b64_e32 v[2:3], v[0:1]
	v_dual_lshlrev_b32 v7, 2, v0 :: v_dual_bitop2_b32 v6, -4, v5 bitop3:0x40
	s_mov_b32 s25, 0
	s_mov_b32 s26, 0
.LBB5_7:                                ; =>This Inner Loop Header: Depth=1
	s_delay_alu instid0(VALU_DEP_2)
	v_add_nc_u32_e32 v10, 0x180, v3
	v_add_nc_u32_e32 v11, 0x100, v3
	;; [unrolled: 1-line block ×3, first 2 shown]
	v_mad_u32 v8, v2, s20, s21
	s_add_co_i32 s26, s26, 8
	v_add_nc_u32_e32 v9, 0x80, v2
	v_add_nc_u32_e32 v13, 0x100, v2
	v_mad_u32 v10, v10, s20, s21
	v_add_nc_u32_e32 v14, 0x180, v2
	v_mad_u32 v11, v11, s20, s21
	v_mad_u32 v12, v12, s20, s21
	;; [unrolled: 1-line block ×6, first 2 shown]
	s_clause 0x7
	global_load_b32 v15, v8, s[4:5] scale_offset
	global_load_b32 v16, v10, s[4:5] scale_offset
	;; [unrolled: 1-line block ×8, first 2 shown]
	v_add_nc_u32_e32 v6, -4, v6
	v_add_nc_u32_e32 v3, 0x200, v3
	v_add_nc_u32_e32 v2, 0x200, v2
	s_wait_xcnt 0x7
	v_mov_b32_e32 v8, s26
	s_wait_loadcnt 0x3
	ds_store_2addr_stride64_b32 v7, v15, v19 offset1:1
	s_wait_loadcnt 0x2
	ds_store_2addr_stride64_b32 v7, v20, v18 offset0:2 offset1:3
	s_wait_loadcnt 0x1
	ds_store_2addr_stride64_b32 v7, v21, v17 offset0:4 offset1:5
	;; [unrolled: 2-line block ×3, first 2 shown]
	v_cmp_eq_u32_e32 vcc_lo, 0, v6
	v_add_nc_u32_e32 v7, 0x800, v7
	s_or_b32 s25, vcc_lo, s25
	s_wait_xcnt 0x0
	s_and_not1_b32 exec_lo, exec_lo, s25
	s_cbranch_execnz .LBB5_7
; %bb.8:
	s_or_b32 exec_lo, exec_lo, s25
.LBB5_9:
	s_delay_alu instid0(SALU_CYCLE_1) | instskip(SKIP_3) | instid1(VALU_DEP_1)
	s_or_b32 exec_lo, exec_lo, s24
	v_and_b32_e32 v1, 3, v5
	s_mov_b32 s25, 0
	s_mov_b32 s24, exec_lo
	v_cmpx_ne_u32_e32 0, v1
	s_cbranch_execz .LBB5_12
; %bb.10:
	v_lshlrev_b32_e32 v5, 2, v0
	s_delay_alu instid0(VALU_DEP_1)
	v_lshl_or_b32 v5, v8, 8, v5
.LBB5_11:                               ; =>This Inner Loop Header: Depth=1
	v_mad_u32 v6, v2, s20, s21
	v_mad_u32 v7, v3, s20, s21
	v_add_nc_u32_e32 v1, -1, v1
	v_add_nc_u32_e32 v3, 0x80, v3
	v_add_nc_u32_e32 v2, 0x80, v2
	s_clause 0x1
	global_load_b32 v8, v6, s[4:5] scale_offset
	global_load_b32 v9, v7, s[4:5] scale_offset
	v_cmp_eq_u32_e32 vcc_lo, 0, v1
	s_or_b32 s25, vcc_lo, s25
	s_wait_loadcnt 0x0
	ds_store_2addr_stride64_b32 v5, v8, v9 offset1:1
	v_add_nc_u32_e32 v5, 0x200, v5
	s_and_not1_b32 exec_lo, exec_lo, s25
	s_cbranch_execnz .LBB5_11
.LBB5_12:
	s_or_b32 exec_lo, exec_lo, s24
	v_add_nc_u32_e32 v1, 1, v4
	s_delay_alu instid0(VALU_DEP_1) | instskip(NEXT) | instid1(VALU_DEP_1)
	v_and_b32_e32 v2, 0x7fffffe, v1
	v_cmp_ne_u32_e32 vcc_lo, v1, v2
	v_lshl_or_b32 v1, v2, 6, v0
	s_or_not1_b32 s24, vcc_lo, exec_lo
.LBB5_13:
	s_or_b32 exec_lo, exec_lo, s3
	v_mov_b32_e32 v2, s23
	s_and_b32 s3, s24, exec_lo
	s_and_not1_saveexec_b32 s22, s22
	s_cbranch_execz .LBB5_3
.LBB5_14:
	s_lshl_b32 s23, s20, 6
	s_or_b32 s3, s3, exec_lo
	v_dual_mov_b32 v2, s23 :: v_dual_mov_b32 v1, v0
	s_or_b32 exec_lo, exec_lo, s22
	s_delay_alu instid0(SALU_CYCLE_1)
	s_and_b32 exec_lo, exec_lo, s3
	s_cbranch_execz .LBB5_17
.LBB5_15:
	s_delay_alu instid0(VALU_DEP_1)
	v_mad_u32 v3, v1, s20, s21
	v_lshlrev_b32_e32 v4, 2, v1
	s_mov_b32 s3, 0
.LBB5_16:                               ; =>This Inner Loop Header: Depth=1
	global_load_b32 v5, v3, s[4:5] scale_offset
	s_wait_xcnt 0x0
	v_dual_add_nc_u32 v1, 64, v1 :: v_dual_add_nc_u32 v3, v3, v2
	s_delay_alu instid0(VALU_DEP_1)
	v_cmp_le_i32_e32 vcc_lo, s13, v1
	s_or_b32 s3, vcc_lo, s3
	s_wait_loadcnt 0x0
	ds_store_b32 v4, v5
	v_add_nc_u32_e32 v4, 0x100, v4
	s_and_not1_b32 exec_lo, exec_lo, s3
	s_cbranch_execnz .LBB5_16
.LBB5_17:
	s_or_b32 exec_lo, exec_lo, s19
	s_bfe_u32 s3, ttmp6, 0x40010
	s_bfe_u32 s4, ttmp6, 0x40004
	s_add_co_i32 s3, s3, 1
	s_wait_dscnt 0x0
	s_mul_i32 s3, ttmp7, s3
	s_barrier_signal -1
	s_add_co_i32 s4, s4, s3
	s_cmp_eq_u32 s18, 0
	s_barrier_wait -1
	s_cselect_b32 s4, ttmp7, s4
	s_delay_alu instid0(SALU_CYCLE_1)
	s_cmp_ge_i32 s4, s12
	s_cbranch_scc1 .LBB5_37
; %bb.18:
	s_clause 0x1
	s_load_b64 s[18:19], s[0:1], 0x50
	s_load_b32 s5, s[0:1], 0x48
	v_dual_lshrrev_b32 v1, 3, v0 :: v_dual_bitop2_b32 v4, 31, v0 bitop3:0x40
	s_mul_u64 s[8:9], s[8:9], s[14:15]
	v_mbcnt_lo_u32_b32 v3, -1, 0
	s_lshl_b64 s[20:21], s[8:9], 2
	s_wait_xcnt 0x0
	v_cmp_eq_u32_e64 s1, 0, v4
	s_lshl_b64 s[16:17], s[16:17], 2
	v_cmp_eq_u32_e64 s0, 0, v0
	v_dual_lshlrev_b32 v2, 2, v0 :: v_dual_mov_b32 v6, 0
	v_lshl_or_b32 v5, v3, 2, 64
	s_add_nc_u64 s[6:7], s[6:7], s[20:21]
	s_wait_kmcnt 0x0
	s_mul_u64 s[8:9], s[18:19], s[14:15]
	v_mul_lo_u32 v4, v0, s5
	s_lshl_b64 s[8:9], s[8:9], 2
	s_cmp_gt_i32 s13, 1
	s_add_nc_u64 s[8:9], s[10:11], s[8:9]
	s_cselect_b32 s3, -1, 0
	s_add_nc_u64 s[8:9], s[8:9], s[16:17]
	s_lshl_b32 s14, s5, 6
	s_branch .LBB5_20
.LBB5_19:                               ;   in Loop: Header=BB5_20 Depth=1
	s_or_b32 exec_lo, exec_lo, s5
	s_add_co_i32 s4, s4, 64
	s_delay_alu instid0(SALU_CYCLE_1)
	s_cmp_ge_i32 s4, s12
	s_cbranch_scc1 .LBB5_37
.LBB5_20:                               ; =>This Loop Header: Depth=1
                                        ;     Child Loop BB5_22 Depth 2
                                        ;     Child Loop BB5_36 Depth 2
	s_ashr_i32 s5, s4, 31
	v_mov_b32_e32 v7, 0
	s_lshl_b64 s[10:11], s[4:5], 2
	s_delay_alu instid0(SALU_CYCLE_1)
	s_add_nc_u64 s[10:11], s[8:9], s[10:11]
	s_and_saveexec_b32 s5, s2
	s_cbranch_execz .LBB5_24
; %bb.21:                               ;   in Loop: Header=BB5_20 Depth=1
	v_dual_mov_b32 v7, 0 :: v_dual_mov_b32 v8, v4
	v_dual_mov_b32 v9, v2 :: v_dual_mov_b32 v10, v0
	s_mov_b32 s15, 0
.LBB5_22:                               ;   Parent Loop BB5_20 Depth=1
                                        ; =>  This Inner Loop Header: Depth=2
	global_load_b32 v11, v8, s[10:11] scale_offset
	ds_load_b32 v12, v9
	s_wait_xcnt 0x0
	v_dual_add_nc_u32 v10, 64, v10 :: v_dual_add_nc_u32 v8, s14, v8
	v_add_nc_u32_e32 v9, 0x100, v9
	s_delay_alu instid0(VALU_DEP_2)
	v_cmp_le_i32_e32 vcc_lo, s13, v10
	s_or_b32 s15, vcc_lo, s15
	s_wait_loadcnt_dscnt 0x0
	v_fmac_f32_e32 v7, v12, v11
	s_and_not1_b32 exec_lo, exec_lo, s15
	s_cbranch_execnz .LBB5_22
; %bb.23:                               ;   in Loop: Header=BB5_20 Depth=1
	s_or_b32 exec_lo, exec_lo, s15
.LBB5_24:                               ;   in Loop: Header=BB5_20 Depth=1
	s_delay_alu instid0(SALU_CYCLE_1) | instskip(NEXT) | instid1(SALU_CYCLE_1)
	s_or_b32 exec_lo, exec_lo, s5
	s_and_b32 vcc_lo, exec_lo, s3
	s_cbranch_vccz .LBB5_31
; %bb.25:                               ;   in Loop: Header=BB5_20 Depth=1
	v_cmp_ne_u32_e32 vcc_lo, 31, v3
	v_add_co_ci_u32_e64 v8, null, 0, v3, vcc_lo
	v_cmp_gt_u32_e32 vcc_lo, 30, v3
	s_delay_alu instid0(VALU_DEP_2)
	v_lshlrev_b32_e32 v8, 2, v8
	v_cndmask_b32_e64 v9, 0, 2, vcc_lo
	v_cmp_gt_u32_e32 vcc_lo, 28, v3
	ds_bpermute_b32 v8, v8, v7
	v_add_lshl_u32 v9, v9, v3, 2
	v_cndmask_b32_e64 v10, 0, 4, vcc_lo
	v_cmp_gt_u32_e32 vcc_lo, 24, v3
	s_delay_alu instid0(VALU_DEP_2)
	v_add_lshl_u32 v10, v10, v3, 2
	s_wait_dscnt 0x0
	v_add_f32_e32 v8, v7, v8
	ds_bpermute_b32 v9, v9, v8
	s_wait_dscnt 0x0
	v_add_f32_e32 v8, v8, v9
	ds_bpermute_b32 v9, v10, v8
	v_cndmask_b32_e64 v10, 0, 8, vcc_lo
	s_wait_dscnt 0x0
	v_add_f32_e32 v8, v8, v9
	s_delay_alu instid0(VALU_DEP_2)
	v_add_lshl_u32 v9, v10, v3, 2
	ds_bpermute_b32 v9, v9, v8
	s_wait_dscnt 0x0
	v_add_f32_e32 v8, v8, v9
	ds_bpermute_b32 v9, v5, v8
	s_wait_dscnt 0x0
	v_add_f32_e32 v9, v8, v9
	s_and_saveexec_b32 s5, s1
; %bb.26:                               ;   in Loop: Header=BB5_20 Depth=1
	ds_store_b32 v1, v9 offset:8192
; %bb.27:                               ;   in Loop: Header=BB5_20 Depth=1
	s_or_b32 exec_lo, exec_lo, s5
	s_mov_b32 s15, 0
	s_mov_b32 s5, 0
	s_wait_dscnt 0x0
	s_barrier_signal -1
	s_barrier_wait -1
                                        ; implicit-def: $vgpr8
	s_and_saveexec_b32 s16, s0
	s_delay_alu instid0(SALU_CYCLE_1)
	s_xor_b32 s16, exec_lo, s16
	s_cbranch_execz .LBB5_29
; %bb.28:                               ;   in Loop: Header=BB5_20 Depth=1
	ds_load_b32 v8, v6 offset:8196
	s_mov_b32 s5, exec_lo
	s_wait_dscnt 0x0
	v_add_f32_e32 v8, v9, v8
.LBB5_29:                               ;   in Loop: Header=BB5_20 Depth=1
	s_or_b32 exec_lo, exec_lo, s16
	s_delay_alu instid0(SALU_CYCLE_1)
	s_and_b32 vcc_lo, exec_lo, s15
	s_cbranch_vccnz .LBB5_32
.LBB5_30:                               ;   in Loop: Header=BB5_20 Depth=1
	s_delay_alu instid0(VALU_DEP_1)
	v_mov_b32_e32 v7, v8
	s_and_saveexec_b32 s15, s5
	s_cbranch_execnz .LBB5_33
	s_branch .LBB5_34
.LBB5_31:                               ;   in Loop: Header=BB5_20 Depth=1
	s_mov_b32 s5, 0
                                        ; implicit-def: $vgpr8
	s_cbranch_execz .LBB5_30
.LBB5_32:                               ;   in Loop: Header=BB5_20 Depth=1
	s_and_not1_b32 s5, s5, exec_lo
	s_and_b32 s15, s0, exec_lo
	s_delay_alu instid0(SALU_CYCLE_1) | instskip(NEXT) | instid1(SALU_CYCLE_1)
	s_or_b32 s5, s5, s15
	s_and_saveexec_b32 s15, s5
.LBB5_33:                               ;   in Loop: Header=BB5_20 Depth=1
	ds_store_b32 v6, v7 offset:8192
.LBB5_34:                               ;   in Loop: Header=BB5_20 Depth=1
	s_or_b32 exec_lo, exec_lo, s15
	s_wait_dscnt 0x0
	s_barrier_signal -1
	s_barrier_wait -1
	s_and_saveexec_b32 s5, s2
	s_cbranch_execz .LBB5_19
; %bb.35:                               ;   in Loop: Header=BB5_20 Depth=1
	global_load_b32 v7, v6, s[6:7]
	ds_load_b32 v9, v6 offset:8192
	s_mov_b32 s15, 0
	v_mov_b32_e32 v8, v4
	s_wait_loadcnt 0x0
	v_xor_b32_e32 v10, 0x80000000, v7
	s_wait_dscnt 0x0
	s_delay_alu instid0(VALU_DEP_1)
	v_dual_mov_b32 v7, v2 :: v_dual_mul_f32 v9, v9, v10
	v_mov_b32_e32 v10, v0
.LBB5_36:                               ;   Parent Loop BB5_20 Depth=1
                                        ; =>  This Inner Loop Header: Depth=2
	global_load_b32 v11, v8, s[10:11] scale_offset
	ds_load_b32 v12, v7
	v_add_nc_u32_e32 v10, 64, v10
	v_add_nc_u32_e32 v7, 0x100, v7
	s_wait_loadcnt_dscnt 0x0
	v_fmac_f32_e32 v11, v9, v12
	s_delay_alu instid0(VALU_DEP_3) | instskip(SKIP_4) | instid1(SALU_CYCLE_1)
	v_cmp_le_i32_e32 vcc_lo, s13, v10
	global_store_b32 v8, v11, s[10:11] scale_offset
	s_wait_xcnt 0x0
	v_add_nc_u32_e32 v8, s14, v8
	s_or_b32 s15, vcc_lo, s15
	s_and_not1_b32 exec_lo, exec_lo, s15
	s_cbranch_execnz .LBB5_36
	s_branch .LBB5_19
.LBB5_37:
	s_endpgm
	.section	.rodata,"a",@progbits
	.p2align	6, 0x0
	.amdhsa_kernel _ZN9rocsolver6v33100L23larf_right_kernel_smallILi64EfiPfEEvT1_S3_T2_lS3_lPKT0_lS4_lS3_l
		.amdhsa_group_segment_fixed_size 8200
		.amdhsa_private_segment_fixed_size 0
		.amdhsa_kernarg_size 88
		.amdhsa_user_sgpr_count 2
		.amdhsa_user_sgpr_dispatch_ptr 0
		.amdhsa_user_sgpr_queue_ptr 0
		.amdhsa_user_sgpr_kernarg_segment_ptr 1
		.amdhsa_user_sgpr_dispatch_id 0
		.amdhsa_user_sgpr_kernarg_preload_length 0
		.amdhsa_user_sgpr_kernarg_preload_offset 0
		.amdhsa_user_sgpr_private_segment_size 0
		.amdhsa_wavefront_size32 1
		.amdhsa_uses_dynamic_stack 0
		.amdhsa_enable_private_segment 0
		.amdhsa_system_sgpr_workgroup_id_x 1
		.amdhsa_system_sgpr_workgroup_id_y 1
		.amdhsa_system_sgpr_workgroup_id_z 0
		.amdhsa_system_sgpr_workgroup_info 0
		.amdhsa_system_vgpr_workitem_id 0
		.amdhsa_next_free_vgpr 81
		.amdhsa_next_free_sgpr 28
		.amdhsa_named_barrier_count 0
		.amdhsa_reserve_vcc 1
		.amdhsa_float_round_mode_32 0
		.amdhsa_float_round_mode_16_64 0
		.amdhsa_float_denorm_mode_32 3
		.amdhsa_float_denorm_mode_16_64 3
		.amdhsa_fp16_overflow 0
		.amdhsa_memory_ordered 1
		.amdhsa_forward_progress 1
		.amdhsa_inst_pref_size 16
		.amdhsa_round_robin_scheduling 0
		.amdhsa_exception_fp_ieee_invalid_op 0
		.amdhsa_exception_fp_denorm_src 0
		.amdhsa_exception_fp_ieee_div_zero 0
		.amdhsa_exception_fp_ieee_overflow 0
		.amdhsa_exception_fp_ieee_underflow 0
		.amdhsa_exception_fp_ieee_inexact 0
		.amdhsa_exception_int_div_zero 0
	.end_amdhsa_kernel
	.section	.text._ZN9rocsolver6v33100L23larf_right_kernel_smallILi64EfiPfEEvT1_S3_T2_lS3_lPKT0_lS4_lS3_l,"axG",@progbits,_ZN9rocsolver6v33100L23larf_right_kernel_smallILi64EfiPfEEvT1_S3_T2_lS3_lPKT0_lS4_lS3_l,comdat
.Lfunc_end5:
	.size	_ZN9rocsolver6v33100L23larf_right_kernel_smallILi64EfiPfEEvT1_S3_T2_lS3_lPKT0_lS4_lS3_l, .Lfunc_end5-_ZN9rocsolver6v33100L23larf_right_kernel_smallILi64EfiPfEEvT1_S3_T2_lS3_lPKT0_lS4_lS3_l
                                        ; -- End function
	.set _ZN9rocsolver6v33100L23larf_right_kernel_smallILi64EfiPfEEvT1_S3_T2_lS3_lPKT0_lS4_lS3_l.num_vgpr, 23
	.set _ZN9rocsolver6v33100L23larf_right_kernel_smallILi64EfiPfEEvT1_S3_T2_lS3_lPKT0_lS4_lS3_l.num_agpr, 0
	.set _ZN9rocsolver6v33100L23larf_right_kernel_smallILi64EfiPfEEvT1_S3_T2_lS3_lPKT0_lS4_lS3_l.numbered_sgpr, 28
	.set _ZN9rocsolver6v33100L23larf_right_kernel_smallILi64EfiPfEEvT1_S3_T2_lS3_lPKT0_lS4_lS3_l.num_named_barrier, 0
	.set _ZN9rocsolver6v33100L23larf_right_kernel_smallILi64EfiPfEEvT1_S3_T2_lS3_lPKT0_lS4_lS3_l.private_seg_size, 0
	.set _ZN9rocsolver6v33100L23larf_right_kernel_smallILi64EfiPfEEvT1_S3_T2_lS3_lPKT0_lS4_lS3_l.uses_vcc, 1
	.set _ZN9rocsolver6v33100L23larf_right_kernel_smallILi64EfiPfEEvT1_S3_T2_lS3_lPKT0_lS4_lS3_l.uses_flat_scratch, 0
	.set _ZN9rocsolver6v33100L23larf_right_kernel_smallILi64EfiPfEEvT1_S3_T2_lS3_lPKT0_lS4_lS3_l.has_dyn_sized_stack, 0
	.set _ZN9rocsolver6v33100L23larf_right_kernel_smallILi64EfiPfEEvT1_S3_T2_lS3_lPKT0_lS4_lS3_l.has_recursion, 0
	.set _ZN9rocsolver6v33100L23larf_right_kernel_smallILi64EfiPfEEvT1_S3_T2_lS3_lPKT0_lS4_lS3_l.has_indirect_call, 0
	.section	.AMDGPU.csdata,"",@progbits
; Kernel info:
; codeLenInByte = 1956
; TotalNumSgprs: 30
; NumVgprs: 23
; ScratchSize: 0
; MemoryBound: 0
; FloatMode: 240
; IeeeMode: 1
; LDSByteSize: 8200 bytes/workgroup (compile time only)
; SGPRBlocks: 0
; VGPRBlocks: 5
; NumSGPRsForWavesPerEU: 30
; NumVGPRsForWavesPerEU: 81
; NamedBarCnt: 0
; Occupancy: 10
; WaveLimiterHint : 0
; COMPUTE_PGM_RSRC2:SCRATCH_EN: 0
; COMPUTE_PGM_RSRC2:USER_SGPR: 2
; COMPUTE_PGM_RSRC2:TRAP_HANDLER: 0
; COMPUTE_PGM_RSRC2:TGID_X_EN: 1
; COMPUTE_PGM_RSRC2:TGID_Y_EN: 1
; COMPUTE_PGM_RSRC2:TGID_Z_EN: 0
; COMPUTE_PGM_RSRC2:TIDIG_COMP_CNT: 0
	.section	.text._ZN9rocsolver6v33100L23larf_right_kernel_smallILi128EfiPfEEvT1_S3_T2_lS3_lPKT0_lS4_lS3_l,"axG",@progbits,_ZN9rocsolver6v33100L23larf_right_kernel_smallILi128EfiPfEEvT1_S3_T2_lS3_lPKT0_lS4_lS3_l,comdat
	.globl	_ZN9rocsolver6v33100L23larf_right_kernel_smallILi128EfiPfEEvT1_S3_T2_lS3_lPKT0_lS4_lS3_l ; -- Begin function _ZN9rocsolver6v33100L23larf_right_kernel_smallILi128EfiPfEEvT1_S3_T2_lS3_lPKT0_lS4_lS3_l
	.p2align	8
	.type	_ZN9rocsolver6v33100L23larf_right_kernel_smallILi128EfiPfEEvT1_S3_T2_lS3_lPKT0_lS4_lS3_l,@function
_ZN9rocsolver6v33100L23larf_right_kernel_smallILi128EfiPfEEvT1_S3_T2_lS3_lPKT0_lS4_lS3_l: ; @_ZN9rocsolver6v33100L23larf_right_kernel_smallILi128EfiPfEEvT1_S3_T2_lS3_lPKT0_lS4_lS3_l
; %bb.0:
	s_clause 0x2
	s_load_b64 s[12:13], s[0:1], 0x0
	s_load_b256 s[4:11], s[0:1], 0x20
	s_load_b64 s[16:17], s[0:1], 0x40
	s_bfe_u32 s2, ttmp6, 0x4000c
	s_and_b32 s3, ttmp6, 15
	s_add_co_i32 s2, s2, 1
	s_getreg_b32 s18, hwreg(HW_REG_IB_STS2, 6, 4)
	s_mul_i32 s2, ttmp9, s2
	s_delay_alu instid0(SALU_CYCLE_1)
	s_add_co_i32 s3, s3, s2
	s_cmp_eq_u32 s18, 0
	s_cselect_b32 s14, ttmp9, s3
	s_mov_b32 s3, 0
	s_ashr_i32 s15, s14, 31
	s_wait_kmcnt 0x0
	v_cmp_gt_i32_e64 s2, s13, v0
	s_and_saveexec_b32 s19, s2
	s_cbranch_execz .LBB6_17
; %bb.1:
	s_clause 0x1
	s_load_b128 s[24:27], s[0:1], 0x8
	s_load_b32 s20, s[0:1], 0x18
	s_mul_u64 s[4:5], s[4:5], s[14:15]
	s_sub_co_i32 s21, 1, s13
	s_lshl_b64 s[4:5], s[4:5], 2
	v_xad_u32 v3, v0, -1, s13
                                        ; implicit-def: $vgpr1
                                        ; implicit-def: $vgpr2
	s_wait_kmcnt 0x0
	s_lshl_b64 s[22:23], s[26:27], 2
	s_add_nc_u64 s[4:5], s[24:25], s[4:5]
	s_mul_i32 s21, s20, s21
	s_cmp_lt_i32 s20, 1
	s_add_nc_u64 s[4:5], s[4:5], s[22:23]
	s_cselect_b32 s21, s21, 0
	s_mov_b32 s24, -1
	s_mov_b32 s22, exec_lo
	v_cmpx_lt_u32_e32 0xc7f, v3
	s_xor_b32 s22, exec_lo, s22
	s_cbranch_execnz .LBB6_4
; %bb.2:
	s_and_not1_saveexec_b32 s22, s22
	s_cbranch_execnz .LBB6_14
.LBB6_3:
	s_or_b32 exec_lo, exec_lo, s22
	s_delay_alu instid0(SALU_CYCLE_1)
	s_and_b32 exec_lo, exec_lo, s3
	s_cbranch_execnz .LBB6_15
	s_branch .LBB6_17
.LBB6_4:
	s_lshl_b32 s23, s20, 7
	v_mad_u32 v1, v0, s20, s21
	s_sub_co_i32 s3, 0, s23
	s_cmp_lt_i32 s23, 0
	v_lshrrev_b32_e32 v4, 7, v3
	s_cselect_b32 vcc_lo, -1, 0
	s_delay_alu instid0(SALU_CYCLE_1)
	s_and_b32 s25, vcc_lo, exec_lo
	s_cselect_b32 s25, s3, s23
	s_delay_alu instid0(VALU_DEP_1) | instid1(SALU_CYCLE_1)
	v_mul_lo_u32 v2, s25, v4
	s_delay_alu instid0(VALU_DEP_1) | instskip(NEXT) | instid1(VALU_DEP_1)
	v_sub_nc_u32_e32 v3, v1, v2
	v_cmp_gt_i32_e64 s3, v3, v1
	s_delay_alu instid0(VALU_DEP_1) | instskip(SKIP_1) | instid1(VALU_DEP_1)
	v_cndmask_b32_e64 v3, 0, 1, s3
	v_add_nc_u32_e32 v2, v1, v2
	v_cmp_lt_i32_e64 s3, v2, v1
	v_mul_hi_u32 v2, s25, v4
	s_delay_alu instid0(VALU_DEP_2) | instskip(NEXT) | instid1(VALU_DEP_1)
	v_cndmask_b32_e64 v1, 0, 1, s3
	v_cndmask_b32_e32 v1, v1, v3, vcc_lo
	s_delay_alu instid0(VALU_DEP_3) | instskip(NEXT) | instid1(VALU_DEP_2)
	v_cmp_eq_u32_e64 s3, 0, v2
	v_and_b32_e32 v1, 1, v1
	s_delay_alu instid0(VALU_DEP_1) | instskip(SKIP_2) | instid1(SALU_CYCLE_1)
	v_cmp_eq_u32_e32 vcc_lo, 1, v1
	v_mov_b32_e32 v1, v0
	s_xor_b32 s25, vcc_lo, -1
	s_and_b32 s25, s25, s3
	s_delay_alu instid0(SALU_CYCLE_1)
	s_and_saveexec_b32 s3, s25
	s_cbranch_execz .LBB6_13
; %bb.5:
	v_dual_add_nc_u32 v2, -1, v4 :: v_dual_mov_b32 v8, 0
	v_or_b32_e32 v1, 0x80, v0
	s_delay_alu instid0(VALU_DEP_2) | instskip(SKIP_1) | instid1(VALU_DEP_2)
	v_lshrrev_b32_e32 v3, 1, v2
	v_cmp_lt_u32_e32 vcc_lo, 5, v2
	v_add_nc_u32_e32 v5, 1, v3
	s_delay_alu instid0(VALU_DEP_4)
	v_mov_b64_e32 v[2:3], v[0:1]
	s_and_saveexec_b32 s24, vcc_lo
	s_cbranch_execz .LBB6_9
; %bb.6:
	v_mov_b64_e32 v[2:3], v[0:1]
	v_dual_lshlrev_b32 v7, 2, v0 :: v_dual_bitop2_b32 v6, -4, v5 bitop3:0x40
	s_mov_b32 s25, 0
	s_mov_b32 s26, 0
.LBB6_7:                                ; =>This Inner Loop Header: Depth=1
	s_delay_alu instid0(VALU_DEP_2)
	v_add_nc_u32_e32 v10, 0x300, v3
	v_add_nc_u32_e32 v11, 0x200, v3
	;; [unrolled: 1-line block ×3, first 2 shown]
	v_mad_u32 v8, v2, s20, s21
	s_add_co_i32 s26, s26, 8
	v_add_nc_u32_e32 v9, 0x100, v2
	v_add_nc_u32_e32 v13, 0x200, v2
	v_mad_u32 v10, v10, s20, s21
	v_add_nc_u32_e32 v14, 0x300, v2
	v_mad_u32 v11, v11, s20, s21
	v_mad_u32 v12, v12, s20, s21
	;; [unrolled: 1-line block ×6, first 2 shown]
	s_clause 0x7
	global_load_b32 v15, v8, s[4:5] scale_offset
	global_load_b32 v16, v10, s[4:5] scale_offset
	;; [unrolled: 1-line block ×8, first 2 shown]
	v_add_nc_u32_e32 v6, -4, v6
	v_add_nc_u32_e32 v3, 0x400, v3
	v_add_nc_u32_e32 v2, 0x400, v2
	s_wait_xcnt 0x7
	v_mov_b32_e32 v8, s26
	s_wait_loadcnt 0x3
	ds_store_2addr_stride64_b32 v7, v15, v19 offset1:2
	s_wait_loadcnt 0x2
	ds_store_2addr_stride64_b32 v7, v20, v18 offset0:4 offset1:6
	s_wait_loadcnt 0x1
	ds_store_2addr_stride64_b32 v7, v21, v17 offset0:8 offset1:10
	;; [unrolled: 2-line block ×3, first 2 shown]
	v_cmp_eq_u32_e32 vcc_lo, 0, v6
	v_add_nc_u32_e32 v7, 0x1000, v7
	s_or_b32 s25, vcc_lo, s25
	s_wait_xcnt 0x0
	s_and_not1_b32 exec_lo, exec_lo, s25
	s_cbranch_execnz .LBB6_7
; %bb.8:
	s_or_b32 exec_lo, exec_lo, s25
.LBB6_9:
	s_delay_alu instid0(SALU_CYCLE_1) | instskip(SKIP_3) | instid1(VALU_DEP_1)
	s_or_b32 exec_lo, exec_lo, s24
	v_and_b32_e32 v1, 3, v5
	s_mov_b32 s25, 0
	s_mov_b32 s24, exec_lo
	v_cmpx_ne_u32_e32 0, v1
	s_cbranch_execz .LBB6_12
; %bb.10:
	v_lshlrev_b32_e32 v5, 2, v0
	s_delay_alu instid0(VALU_DEP_1)
	v_lshl_or_b32 v5, v8, 9, v5
.LBB6_11:                               ; =>This Inner Loop Header: Depth=1
	v_mad_u32 v6, v2, s20, s21
	v_mad_u32 v7, v3, s20, s21
	v_add_nc_u32_e32 v1, -1, v1
	v_add_nc_u32_e32 v3, 0x100, v3
	v_add_nc_u32_e32 v2, 0x100, v2
	s_clause 0x1
	global_load_b32 v8, v6, s[4:5] scale_offset
	global_load_b32 v9, v7, s[4:5] scale_offset
	v_cmp_eq_u32_e32 vcc_lo, 0, v1
	s_or_b32 s25, vcc_lo, s25
	s_wait_loadcnt 0x0
	ds_store_2addr_stride64_b32 v5, v8, v9 offset1:2
	v_add_nc_u32_e32 v5, 0x400, v5
	s_and_not1_b32 exec_lo, exec_lo, s25
	s_cbranch_execnz .LBB6_11
.LBB6_12:
	s_or_b32 exec_lo, exec_lo, s24
	v_add_nc_u32_e32 v1, 1, v4
	s_delay_alu instid0(VALU_DEP_1) | instskip(NEXT) | instid1(VALU_DEP_1)
	v_and_b32_e32 v2, 0x3fffffe, v1
	v_cmp_ne_u32_e32 vcc_lo, v1, v2
	v_lshl_or_b32 v1, v2, 7, v0
	s_or_not1_b32 s24, vcc_lo, exec_lo
.LBB6_13:
	s_or_b32 exec_lo, exec_lo, s3
	v_mov_b32_e32 v2, s23
	s_and_b32 s3, s24, exec_lo
	s_and_not1_saveexec_b32 s22, s22
	s_cbranch_execz .LBB6_3
.LBB6_14:
	s_lshl_b32 s23, s20, 7
	s_or_b32 s3, s3, exec_lo
	v_dual_mov_b32 v2, s23 :: v_dual_mov_b32 v1, v0
	s_or_b32 exec_lo, exec_lo, s22
	s_delay_alu instid0(SALU_CYCLE_1)
	s_and_b32 exec_lo, exec_lo, s3
	s_cbranch_execz .LBB6_17
.LBB6_15:
	s_delay_alu instid0(VALU_DEP_1)
	v_mad_u32 v3, v1, s20, s21
	v_lshlrev_b32_e32 v4, 2, v1
	s_mov_b32 s3, 0
.LBB6_16:                               ; =>This Inner Loop Header: Depth=1
	global_load_b32 v5, v3, s[4:5] scale_offset
	v_add_nc_u32_e32 v1, 0x80, v1
	s_wait_xcnt 0x0
	v_add_nc_u32_e32 v3, v3, v2
	s_delay_alu instid0(VALU_DEP_2)
	v_cmp_le_i32_e32 vcc_lo, s13, v1
	s_or_b32 s3, vcc_lo, s3
	s_wait_loadcnt 0x0
	ds_store_b32 v4, v5
	v_add_nc_u32_e32 v4, 0x200, v4
	s_and_not1_b32 exec_lo, exec_lo, s3
	s_cbranch_execnz .LBB6_16
.LBB6_17:
	s_or_b32 exec_lo, exec_lo, s19
	s_bfe_u32 s3, ttmp6, 0x40010
	s_bfe_u32 s4, ttmp6, 0x40004
	s_add_co_i32 s3, s3, 1
	s_wait_dscnt 0x0
	s_mul_i32 s3, ttmp7, s3
	s_barrier_signal -1
	s_add_co_i32 s4, s4, s3
	s_cmp_eq_u32 s18, 0
	s_barrier_wait -1
	s_cselect_b32 s4, ttmp7, s4
	s_delay_alu instid0(SALU_CYCLE_1)
	s_cmp_ge_i32 s4, s12
	s_cbranch_scc1 .LBB6_37
; %bb.18:
	s_clause 0x1
	s_load_b64 s[18:19], s[0:1], 0x50
	s_load_b32 s5, s[0:1], 0x48
	v_dual_lshrrev_b32 v1, 3, v0 :: v_dual_bitop2_b32 v5, 31, v0 bitop3:0x40
	s_mul_u64 s[8:9], s[8:9], s[14:15]
	v_mbcnt_lo_u32_b32 v3, -1, 0
	s_lshl_b64 s[20:21], s[8:9], 2
	s_wait_xcnt 0x0
	v_cmp_eq_u32_e64 s1, 0, v5
	s_lshl_b64 s[16:17], s[16:17], 2
	v_cmp_eq_u32_e64 s0, 0, v0
	v_dual_mov_b32 v7, 0 :: v_dual_lshlrev_b32 v2, 2, v0
	v_mov_b32_e32 v4, 0x2004
	v_lshl_or_b32 v6, v3, 2, 64
	s_add_nc_u64 s[6:7], s[6:7], s[20:21]
	s_wait_kmcnt 0x0
	s_mul_u64 s[8:9], s[18:19], s[14:15]
	v_mul_lo_u32 v5, v0, s5
	s_lshl_b64 s[8:9], s[8:9], 2
	s_cmp_gt_i32 s13, 1
	s_add_nc_u64 s[8:9], s[10:11], s[8:9]
	s_cselect_b32 s3, -1, 0
	s_add_nc_u64 s[8:9], s[8:9], s[16:17]
	s_lshl_b32 s14, s5, 7
	s_branch .LBB6_20
.LBB6_19:                               ;   in Loop: Header=BB6_20 Depth=1
	s_or_b32 exec_lo, exec_lo, s5
	s_add_co_i32 s4, s4, 64
	s_delay_alu instid0(SALU_CYCLE_1)
	s_cmp_ge_i32 s4, s12
	s_cbranch_scc1 .LBB6_37
.LBB6_20:                               ; =>This Loop Header: Depth=1
                                        ;     Child Loop BB6_22 Depth 2
                                        ;     Child Loop BB6_36 Depth 2
	s_ashr_i32 s5, s4, 31
	v_mov_b32_e32 v8, 0
	s_lshl_b64 s[10:11], s[4:5], 2
	s_delay_alu instid0(SALU_CYCLE_1)
	s_add_nc_u64 s[10:11], s[8:9], s[10:11]
	s_and_saveexec_b32 s5, s2
	s_cbranch_execz .LBB6_24
; %bb.21:                               ;   in Loop: Header=BB6_20 Depth=1
	v_dual_mov_b32 v8, 0 :: v_dual_mov_b32 v9, v5
	v_dual_mov_b32 v10, v2 :: v_dual_mov_b32 v11, v0
	s_mov_b32 s15, 0
.LBB6_22:                               ;   Parent Loop BB6_20 Depth=1
                                        ; =>  This Inner Loop Header: Depth=2
	global_load_b32 v12, v9, s[10:11] scale_offset
	ds_load_b32 v13, v10
	v_add_nc_u32_e32 v11, 0x80, v11
	v_add_nc_u32_e32 v10, 0x200, v10
	s_wait_loadcnt_dscnt 0x0
	s_wait_xcnt 0x0
	v_dual_fmac_f32 v8, v13, v12 :: v_dual_add_nc_u32 v9, s14, v9
	v_cmp_le_i32_e32 vcc_lo, s13, v11
	s_or_b32 s15, vcc_lo, s15
	s_delay_alu instid0(SALU_CYCLE_1)
	s_and_not1_b32 exec_lo, exec_lo, s15
	s_cbranch_execnz .LBB6_22
; %bb.23:                               ;   in Loop: Header=BB6_20 Depth=1
	s_or_b32 exec_lo, exec_lo, s15
.LBB6_24:                               ;   in Loop: Header=BB6_20 Depth=1
	s_delay_alu instid0(SALU_CYCLE_1) | instskip(NEXT) | instid1(SALU_CYCLE_1)
	s_or_b32 exec_lo, exec_lo, s5
	s_and_b32 vcc_lo, exec_lo, s3
	s_cbranch_vccz .LBB6_31
; %bb.25:                               ;   in Loop: Header=BB6_20 Depth=1
	v_cmp_ne_u32_e32 vcc_lo, 31, v3
	v_add_co_ci_u32_e64 v9, null, 0, v3, vcc_lo
	v_cmp_gt_u32_e32 vcc_lo, 30, v3
	s_delay_alu instid0(VALU_DEP_2)
	v_lshlrev_b32_e32 v9, 2, v9
	v_cndmask_b32_e64 v10, 0, 2, vcc_lo
	v_cmp_gt_u32_e32 vcc_lo, 28, v3
	ds_bpermute_b32 v9, v9, v8
	v_add_lshl_u32 v10, v10, v3, 2
	v_cndmask_b32_e64 v11, 0, 4, vcc_lo
	v_cmp_gt_u32_e32 vcc_lo, 24, v3
	s_delay_alu instid0(VALU_DEP_2)
	v_add_lshl_u32 v11, v11, v3, 2
	s_wait_dscnt 0x0
	v_add_f32_e32 v9, v8, v9
	ds_bpermute_b32 v10, v10, v9
	s_wait_dscnt 0x0
	v_add_f32_e32 v9, v9, v10
	ds_bpermute_b32 v10, v11, v9
	v_cndmask_b32_e64 v11, 0, 8, vcc_lo
	s_wait_dscnt 0x0
	v_add_f32_e32 v9, v9, v10
	s_delay_alu instid0(VALU_DEP_2)
	v_add_lshl_u32 v10, v11, v3, 2
	ds_bpermute_b32 v10, v10, v9
	s_wait_dscnt 0x0
	v_add_f32_e32 v9, v9, v10
	ds_bpermute_b32 v10, v6, v9
	s_wait_dscnt 0x0
	v_add_f32_e32 v10, v9, v10
	s_and_saveexec_b32 s5, s1
; %bb.26:                               ;   in Loop: Header=BB6_20 Depth=1
	ds_store_b32 v1, v10 offset:8192
; %bb.27:                               ;   in Loop: Header=BB6_20 Depth=1
	s_or_b32 exec_lo, exec_lo, s5
	s_mov_b32 s15, 0
	s_mov_b32 s5, 0
	s_wait_dscnt 0x0
	s_barrier_signal -1
	s_barrier_wait -1
                                        ; implicit-def: $vgpr9
	s_and_saveexec_b32 s16, s0
	s_delay_alu instid0(SALU_CYCLE_1)
	s_xor_b32 s16, exec_lo, s16
	s_cbranch_execz .LBB6_29
; %bb.28:                               ;   in Loop: Header=BB6_20 Depth=1
	ds_load_2addr_b32 v[12:13], v4 offset1:1
	ds_load_b32 v9, v7 offset:8204
	s_mov_b32 s5, exec_lo
	s_wait_dscnt 0x1
	v_add_f32_e32 v10, v10, v12
	s_delay_alu instid0(VALU_DEP_1) | instskip(SKIP_1) | instid1(VALU_DEP_1)
	v_add_f32_e32 v10, v10, v13
	s_wait_dscnt 0x0
	v_add_f32_e32 v9, v10, v9
.LBB6_29:                               ;   in Loop: Header=BB6_20 Depth=1
	s_or_b32 exec_lo, exec_lo, s16
	s_delay_alu instid0(SALU_CYCLE_1)
	s_and_b32 vcc_lo, exec_lo, s15
	s_cbranch_vccnz .LBB6_32
.LBB6_30:                               ;   in Loop: Header=BB6_20 Depth=1
	s_delay_alu instid0(VALU_DEP_1)
	v_mov_b32_e32 v8, v9
	s_and_saveexec_b32 s15, s5
	s_cbranch_execnz .LBB6_33
	s_branch .LBB6_34
.LBB6_31:                               ;   in Loop: Header=BB6_20 Depth=1
	s_mov_b32 s5, 0
                                        ; implicit-def: $vgpr9
	s_cbranch_execz .LBB6_30
.LBB6_32:                               ;   in Loop: Header=BB6_20 Depth=1
	s_and_not1_b32 s5, s5, exec_lo
	s_and_b32 s15, s0, exec_lo
	s_delay_alu instid0(SALU_CYCLE_1) | instskip(NEXT) | instid1(SALU_CYCLE_1)
	s_or_b32 s5, s5, s15
	s_and_saveexec_b32 s15, s5
.LBB6_33:                               ;   in Loop: Header=BB6_20 Depth=1
	ds_store_b32 v7, v8 offset:8192
.LBB6_34:                               ;   in Loop: Header=BB6_20 Depth=1
	s_or_b32 exec_lo, exec_lo, s15
	s_wait_dscnt 0x0
	s_barrier_signal -1
	s_barrier_wait -1
	s_and_saveexec_b32 s5, s2
	s_cbranch_execz .LBB6_19
; %bb.35:                               ;   in Loop: Header=BB6_20 Depth=1
	global_load_b32 v8, v7, s[6:7]
	ds_load_b32 v10, v7 offset:8192
	s_mov_b32 s15, 0
	v_mov_b32_e32 v9, v5
	s_wait_loadcnt 0x0
	v_xor_b32_e32 v11, 0x80000000, v8
	v_mov_b32_e32 v8, v2
	s_wait_dscnt 0x0
	s_delay_alu instid0(VALU_DEP_2)
	v_dual_mul_f32 v10, v10, v11 :: v_dual_mov_b32 v11, v0
.LBB6_36:                               ;   Parent Loop BB6_20 Depth=1
                                        ; =>  This Inner Loop Header: Depth=2
	global_load_b32 v12, v9, s[10:11] scale_offset
	ds_load_b32 v13, v8
	v_add_nc_u32_e32 v11, 0x80, v11
	v_add_nc_u32_e32 v8, 0x200, v8
	s_wait_loadcnt_dscnt 0x0
	v_fmac_f32_e32 v12, v10, v13
	s_delay_alu instid0(VALU_DEP_3) | instskip(SKIP_4) | instid1(SALU_CYCLE_1)
	v_cmp_le_i32_e32 vcc_lo, s13, v11
	global_store_b32 v9, v12, s[10:11] scale_offset
	s_wait_xcnt 0x0
	v_add_nc_u32_e32 v9, s14, v9
	s_or_b32 s15, vcc_lo, s15
	s_and_not1_b32 exec_lo, exec_lo, s15
	s_cbranch_execnz .LBB6_36
	s_branch .LBB6_19
.LBB6_37:
	s_endpgm
	.section	.rodata,"a",@progbits
	.p2align	6, 0x0
	.amdhsa_kernel _ZN9rocsolver6v33100L23larf_right_kernel_smallILi128EfiPfEEvT1_S3_T2_lS3_lPKT0_lS4_lS3_l
		.amdhsa_group_segment_fixed_size 8208
		.amdhsa_private_segment_fixed_size 0
		.amdhsa_kernarg_size 88
		.amdhsa_user_sgpr_count 2
		.amdhsa_user_sgpr_dispatch_ptr 0
		.amdhsa_user_sgpr_queue_ptr 0
		.amdhsa_user_sgpr_kernarg_segment_ptr 1
		.amdhsa_user_sgpr_dispatch_id 0
		.amdhsa_user_sgpr_kernarg_preload_length 0
		.amdhsa_user_sgpr_kernarg_preload_offset 0
		.amdhsa_user_sgpr_private_segment_size 0
		.amdhsa_wavefront_size32 1
		.amdhsa_uses_dynamic_stack 0
		.amdhsa_enable_private_segment 0
		.amdhsa_system_sgpr_workgroup_id_x 1
		.amdhsa_system_sgpr_workgroup_id_y 1
		.amdhsa_system_sgpr_workgroup_id_z 0
		.amdhsa_system_sgpr_workgroup_info 0
		.amdhsa_system_vgpr_workitem_id 0
		.amdhsa_next_free_vgpr 23
		.amdhsa_next_free_sgpr 28
		.amdhsa_named_barrier_count 0
		.amdhsa_reserve_vcc 1
		.amdhsa_float_round_mode_32 0
		.amdhsa_float_round_mode_16_64 0
		.amdhsa_float_denorm_mode_32 3
		.amdhsa_float_denorm_mode_16_64 3
		.amdhsa_fp16_overflow 0
		.amdhsa_memory_ordered 1
		.amdhsa_forward_progress 1
		.amdhsa_inst_pref_size 16
		.amdhsa_round_robin_scheduling 0
		.amdhsa_exception_fp_ieee_invalid_op 0
		.amdhsa_exception_fp_denorm_src 0
		.amdhsa_exception_fp_ieee_div_zero 0
		.amdhsa_exception_fp_ieee_overflow 0
		.amdhsa_exception_fp_ieee_underflow 0
		.amdhsa_exception_fp_ieee_inexact 0
		.amdhsa_exception_int_div_zero 0
	.end_amdhsa_kernel
	.section	.text._ZN9rocsolver6v33100L23larf_right_kernel_smallILi128EfiPfEEvT1_S3_T2_lS3_lPKT0_lS4_lS3_l,"axG",@progbits,_ZN9rocsolver6v33100L23larf_right_kernel_smallILi128EfiPfEEvT1_S3_T2_lS3_lPKT0_lS4_lS3_l,comdat
.Lfunc_end6:
	.size	_ZN9rocsolver6v33100L23larf_right_kernel_smallILi128EfiPfEEvT1_S3_T2_lS3_lPKT0_lS4_lS3_l, .Lfunc_end6-_ZN9rocsolver6v33100L23larf_right_kernel_smallILi128EfiPfEEvT1_S3_T2_lS3_lPKT0_lS4_lS3_l
                                        ; -- End function
	.set _ZN9rocsolver6v33100L23larf_right_kernel_smallILi128EfiPfEEvT1_S3_T2_lS3_lPKT0_lS4_lS3_l.num_vgpr, 23
	.set _ZN9rocsolver6v33100L23larf_right_kernel_smallILi128EfiPfEEvT1_S3_T2_lS3_lPKT0_lS4_lS3_l.num_agpr, 0
	.set _ZN9rocsolver6v33100L23larf_right_kernel_smallILi128EfiPfEEvT1_S3_T2_lS3_lPKT0_lS4_lS3_l.numbered_sgpr, 28
	.set _ZN9rocsolver6v33100L23larf_right_kernel_smallILi128EfiPfEEvT1_S3_T2_lS3_lPKT0_lS4_lS3_l.num_named_barrier, 0
	.set _ZN9rocsolver6v33100L23larf_right_kernel_smallILi128EfiPfEEvT1_S3_T2_lS3_lPKT0_lS4_lS3_l.private_seg_size, 0
	.set _ZN9rocsolver6v33100L23larf_right_kernel_smallILi128EfiPfEEvT1_S3_T2_lS3_lPKT0_lS4_lS3_l.uses_vcc, 1
	.set _ZN9rocsolver6v33100L23larf_right_kernel_smallILi128EfiPfEEvT1_S3_T2_lS3_lPKT0_lS4_lS3_l.uses_flat_scratch, 0
	.set _ZN9rocsolver6v33100L23larf_right_kernel_smallILi128EfiPfEEvT1_S3_T2_lS3_lPKT0_lS4_lS3_l.has_dyn_sized_stack, 0
	.set _ZN9rocsolver6v33100L23larf_right_kernel_smallILi128EfiPfEEvT1_S3_T2_lS3_lPKT0_lS4_lS3_l.has_recursion, 0
	.set _ZN9rocsolver6v33100L23larf_right_kernel_smallILi128EfiPfEEvT1_S3_T2_lS3_lPKT0_lS4_lS3_l.has_indirect_call, 0
	.section	.AMDGPU.csdata,"",@progbits
; Kernel info:
; codeLenInByte = 1984
; TotalNumSgprs: 30
; NumVgprs: 23
; ScratchSize: 0
; MemoryBound: 0
; FloatMode: 240
; IeeeMode: 1
; LDSByteSize: 8208 bytes/workgroup (compile time only)
; SGPRBlocks: 0
; VGPRBlocks: 1
; NumSGPRsForWavesPerEU: 30
; NumVGPRsForWavesPerEU: 23
; NamedBarCnt: 0
; Occupancy: 16
; WaveLimiterHint : 0
; COMPUTE_PGM_RSRC2:SCRATCH_EN: 0
; COMPUTE_PGM_RSRC2:USER_SGPR: 2
; COMPUTE_PGM_RSRC2:TRAP_HANDLER: 0
; COMPUTE_PGM_RSRC2:TGID_X_EN: 1
; COMPUTE_PGM_RSRC2:TGID_Y_EN: 1
; COMPUTE_PGM_RSRC2:TGID_Z_EN: 0
; COMPUTE_PGM_RSRC2:TIDIG_COMP_CNT: 0
	.section	.text._ZN9rocsolver6v33100L23larf_right_kernel_smallILi256EfiPfEEvT1_S3_T2_lS3_lPKT0_lS4_lS3_l,"axG",@progbits,_ZN9rocsolver6v33100L23larf_right_kernel_smallILi256EfiPfEEvT1_S3_T2_lS3_lPKT0_lS4_lS3_l,comdat
	.globl	_ZN9rocsolver6v33100L23larf_right_kernel_smallILi256EfiPfEEvT1_S3_T2_lS3_lPKT0_lS4_lS3_l ; -- Begin function _ZN9rocsolver6v33100L23larf_right_kernel_smallILi256EfiPfEEvT1_S3_T2_lS3_lPKT0_lS4_lS3_l
	.p2align	8
	.type	_ZN9rocsolver6v33100L23larf_right_kernel_smallILi256EfiPfEEvT1_S3_T2_lS3_lPKT0_lS4_lS3_l,@function
_ZN9rocsolver6v33100L23larf_right_kernel_smallILi256EfiPfEEvT1_S3_T2_lS3_lPKT0_lS4_lS3_l: ; @_ZN9rocsolver6v33100L23larf_right_kernel_smallILi256EfiPfEEvT1_S3_T2_lS3_lPKT0_lS4_lS3_l
; %bb.0:
	s_clause 0x2
	s_load_b64 s[12:13], s[0:1], 0x0
	s_load_b256 s[4:11], s[0:1], 0x20
	s_load_b64 s[16:17], s[0:1], 0x40
	s_bfe_u32 s2, ttmp6, 0x4000c
	s_and_b32 s3, ttmp6, 15
	s_add_co_i32 s2, s2, 1
	s_getreg_b32 s18, hwreg(HW_REG_IB_STS2, 6, 4)
	s_mul_i32 s2, ttmp9, s2
	s_delay_alu instid0(SALU_CYCLE_1)
	s_add_co_i32 s3, s3, s2
	s_cmp_eq_u32 s18, 0
	s_cselect_b32 s14, ttmp9, s3
	s_mov_b32 s3, 0
	s_ashr_i32 s15, s14, 31
	s_wait_kmcnt 0x0
	v_cmp_gt_i32_e64 s2, s13, v0
	s_and_saveexec_b32 s19, s2
	s_cbranch_execz .LBB7_17
; %bb.1:
	s_clause 0x1
	s_load_b128 s[24:27], s[0:1], 0x8
	s_load_b32 s20, s[0:1], 0x18
	s_mul_u64 s[4:5], s[4:5], s[14:15]
	s_sub_co_i32 s21, 1, s13
	s_lshl_b64 s[4:5], s[4:5], 2
	v_xad_u32 v3, v0, -1, s13
                                        ; implicit-def: $vgpr1
                                        ; implicit-def: $vgpr2
	s_wait_kmcnt 0x0
	s_lshl_b64 s[22:23], s[26:27], 2
	s_add_nc_u64 s[4:5], s[24:25], s[4:5]
	s_mul_i32 s21, s20, s21
	s_cmp_lt_i32 s20, 1
	s_add_nc_u64 s[4:5], s[4:5], s[22:23]
	s_cselect_b32 s21, s21, 0
	s_mov_b32 s24, -1
	s_mov_b32 s22, exec_lo
	v_cmpx_lt_u32_e32 0x18ff, v3
	s_xor_b32 s22, exec_lo, s22
	s_cbranch_execnz .LBB7_4
; %bb.2:
	s_and_not1_saveexec_b32 s22, s22
	s_cbranch_execnz .LBB7_14
.LBB7_3:
	s_or_b32 exec_lo, exec_lo, s22
	s_delay_alu instid0(SALU_CYCLE_1)
	s_and_b32 exec_lo, exec_lo, s3
	s_cbranch_execnz .LBB7_15
	s_branch .LBB7_17
.LBB7_4:
	s_lshl_b32 s23, s20, 8
	v_mad_u32 v1, v0, s20, s21
	s_sub_co_i32 s3, 0, s23
	s_cmp_lt_i32 s23, 0
	v_lshrrev_b32_e32 v4, 8, v3
	s_cselect_b32 vcc_lo, -1, 0
	s_delay_alu instid0(SALU_CYCLE_1)
	s_and_b32 s25, vcc_lo, exec_lo
	s_cselect_b32 s25, s3, s23
	s_delay_alu instid0(VALU_DEP_1) | instid1(SALU_CYCLE_1)
	v_mul_lo_u32 v2, s25, v4
	s_delay_alu instid0(VALU_DEP_1) | instskip(NEXT) | instid1(VALU_DEP_1)
	v_sub_nc_u32_e32 v3, v1, v2
	v_cmp_gt_i32_e64 s3, v3, v1
	s_delay_alu instid0(VALU_DEP_1) | instskip(SKIP_1) | instid1(VALU_DEP_1)
	v_cndmask_b32_e64 v3, 0, 1, s3
	v_add_nc_u32_e32 v2, v1, v2
	v_cmp_lt_i32_e64 s3, v2, v1
	v_mul_hi_u32 v2, s25, v4
	s_delay_alu instid0(VALU_DEP_2) | instskip(NEXT) | instid1(VALU_DEP_1)
	v_cndmask_b32_e64 v1, 0, 1, s3
	v_cndmask_b32_e32 v1, v1, v3, vcc_lo
	s_delay_alu instid0(VALU_DEP_3) | instskip(NEXT) | instid1(VALU_DEP_2)
	v_cmp_eq_u32_e64 s3, 0, v2
	v_and_b32_e32 v1, 1, v1
	s_delay_alu instid0(VALU_DEP_1) | instskip(SKIP_2) | instid1(SALU_CYCLE_1)
	v_cmp_eq_u32_e32 vcc_lo, 1, v1
	v_mov_b32_e32 v1, v0
	s_xor_b32 s25, vcc_lo, -1
	s_and_b32 s25, s25, s3
	s_delay_alu instid0(SALU_CYCLE_1)
	s_and_saveexec_b32 s3, s25
	s_cbranch_execz .LBB7_13
; %bb.5:
	v_dual_add_nc_u32 v2, -1, v4 :: v_dual_mov_b32 v8, 0
	v_or_b32_e32 v1, 0x100, v0
	s_delay_alu instid0(VALU_DEP_2) | instskip(SKIP_1) | instid1(VALU_DEP_2)
	v_lshrrev_b32_e32 v3, 1, v2
	v_cmp_lt_u32_e32 vcc_lo, 5, v2
	v_add_nc_u32_e32 v5, 1, v3
	s_delay_alu instid0(VALU_DEP_4)
	v_mov_b64_e32 v[2:3], v[0:1]
	s_and_saveexec_b32 s24, vcc_lo
	s_cbranch_execz .LBB7_9
; %bb.6:
	v_mov_b64_e32 v[2:3], v[0:1]
	v_dual_lshlrev_b32 v7, 2, v0 :: v_dual_bitop2_b32 v6, -4, v5 bitop3:0x40
	s_mov_b32 s25, 0
	s_mov_b32 s26, 0
.LBB7_7:                                ; =>This Inner Loop Header: Depth=1
	s_delay_alu instid0(VALU_DEP_2)
	v_add_nc_u32_e32 v10, 0x600, v3
	v_add_nc_u32_e32 v11, 0x400, v3
	;; [unrolled: 1-line block ×3, first 2 shown]
	v_mad_u32 v8, v2, s20, s21
	s_add_co_i32 s26, s26, 8
	v_add_nc_u32_e32 v9, 0x200, v2
	v_add_nc_u32_e32 v13, 0x400, v2
	v_mad_u32 v10, v10, s20, s21
	v_add_nc_u32_e32 v14, 0x600, v2
	v_mad_u32 v11, v11, s20, s21
	v_mad_u32 v12, v12, s20, s21
	v_mad_u32 v1, v3, s20, s21
	v_mad_u32 v9, v9, s20, s21
	v_mad_u32 v13, v13, s20, s21
	v_mad_u32 v14, v14, s20, s21
	s_clause 0x7
	global_load_b32 v15, v8, s[4:5] scale_offset
	global_load_b32 v16, v10, s[4:5] scale_offset
	;; [unrolled: 1-line block ×8, first 2 shown]
	v_add_nc_u32_e32 v6, -4, v6
	v_add_nc_u32_e32 v3, 0x800, v3
	v_add_nc_u32_e32 v2, 0x800, v2
	s_wait_xcnt 0x7
	v_mov_b32_e32 v8, s26
	s_wait_loadcnt 0x3
	ds_store_2addr_stride64_b32 v7, v15, v19 offset1:4
	s_wait_loadcnt 0x2
	ds_store_2addr_stride64_b32 v7, v20, v18 offset0:8 offset1:12
	s_wait_loadcnt 0x1
	ds_store_2addr_stride64_b32 v7, v21, v17 offset0:16 offset1:20
	s_wait_loadcnt 0x0
	ds_store_2addr_stride64_b32 v7, v22, v16 offset0:24 offset1:28
	v_cmp_eq_u32_e32 vcc_lo, 0, v6
	v_add_nc_u32_e32 v7, 0x2000, v7
	s_or_b32 s25, vcc_lo, s25
	s_wait_xcnt 0x0
	s_and_not1_b32 exec_lo, exec_lo, s25
	s_cbranch_execnz .LBB7_7
; %bb.8:
	s_or_b32 exec_lo, exec_lo, s25
.LBB7_9:
	s_delay_alu instid0(SALU_CYCLE_1) | instskip(SKIP_3) | instid1(VALU_DEP_1)
	s_or_b32 exec_lo, exec_lo, s24
	v_and_b32_e32 v1, 3, v5
	s_mov_b32 s25, 0
	s_mov_b32 s24, exec_lo
	v_cmpx_ne_u32_e32 0, v1
	s_cbranch_execz .LBB7_12
; %bb.10:
	v_lshlrev_b32_e32 v5, 2, v0
	s_delay_alu instid0(VALU_DEP_1)
	v_lshl_or_b32 v5, v8, 10, v5
.LBB7_11:                               ; =>This Inner Loop Header: Depth=1
	v_mad_u32 v6, v2, s20, s21
	v_mad_u32 v7, v3, s20, s21
	v_add_nc_u32_e32 v1, -1, v1
	v_add_nc_u32_e32 v3, 0x200, v3
	v_add_nc_u32_e32 v2, 0x200, v2
	s_clause 0x1
	global_load_b32 v8, v6, s[4:5] scale_offset
	global_load_b32 v9, v7, s[4:5] scale_offset
	v_cmp_eq_u32_e32 vcc_lo, 0, v1
	s_or_b32 s25, vcc_lo, s25
	s_wait_loadcnt 0x0
	ds_store_2addr_stride64_b32 v5, v8, v9 offset1:4
	v_add_nc_u32_e32 v5, 0x800, v5
	s_and_not1_b32 exec_lo, exec_lo, s25
	s_cbranch_execnz .LBB7_11
.LBB7_12:
	s_or_b32 exec_lo, exec_lo, s24
	v_add_nc_u32_e32 v1, 1, v4
	s_delay_alu instid0(VALU_DEP_1) | instskip(NEXT) | instid1(VALU_DEP_1)
	v_and_b32_e32 v2, 0x1fffffe, v1
	v_cmp_ne_u32_e32 vcc_lo, v1, v2
	v_lshl_or_b32 v1, v2, 8, v0
	s_or_not1_b32 s24, vcc_lo, exec_lo
.LBB7_13:
	s_or_b32 exec_lo, exec_lo, s3
	v_mov_b32_e32 v2, s23
	s_and_b32 s3, s24, exec_lo
	s_and_not1_saveexec_b32 s22, s22
	s_cbranch_execz .LBB7_3
.LBB7_14:
	s_lshl_b32 s23, s20, 8
	s_or_b32 s3, s3, exec_lo
	v_dual_mov_b32 v2, s23 :: v_dual_mov_b32 v1, v0
	s_or_b32 exec_lo, exec_lo, s22
	s_delay_alu instid0(SALU_CYCLE_1)
	s_and_b32 exec_lo, exec_lo, s3
	s_cbranch_execz .LBB7_17
.LBB7_15:
	s_delay_alu instid0(VALU_DEP_1)
	v_mad_u32 v3, v1, s20, s21
	v_lshlrev_b32_e32 v4, 2, v1
	s_mov_b32 s3, 0
.LBB7_16:                               ; =>This Inner Loop Header: Depth=1
	global_load_b32 v5, v3, s[4:5] scale_offset
	v_add_nc_u32_e32 v1, 0x100, v1
	s_wait_xcnt 0x0
	v_add_nc_u32_e32 v3, v3, v2
	s_delay_alu instid0(VALU_DEP_2)
	v_cmp_le_i32_e32 vcc_lo, s13, v1
	s_or_b32 s3, vcc_lo, s3
	s_wait_loadcnt 0x0
	ds_store_b32 v4, v5
	v_add_nc_u32_e32 v4, 0x400, v4
	s_and_not1_b32 exec_lo, exec_lo, s3
	s_cbranch_execnz .LBB7_16
.LBB7_17:
	s_or_b32 exec_lo, exec_lo, s19
	s_bfe_u32 s3, ttmp6, 0x40010
	s_bfe_u32 s4, ttmp6, 0x40004
	s_add_co_i32 s3, s3, 1
	s_wait_dscnt 0x0
	s_mul_i32 s3, ttmp7, s3
	s_barrier_signal -1
	s_add_co_i32 s4, s4, s3
	s_cmp_eq_u32 s18, 0
	s_barrier_wait -1
	s_cselect_b32 s4, ttmp7, s4
	s_delay_alu instid0(SALU_CYCLE_1)
	s_cmp_ge_i32 s4, s12
	s_cbranch_scc1 .LBB7_37
; %bb.18:
	s_clause 0x1
	s_load_b64 s[18:19], s[0:1], 0x50
	s_load_b32 s5, s[0:1], 0x48
	v_dual_lshrrev_b32 v1, 3, v0 :: v_dual_bitop2_b32 v7, 31, v0 bitop3:0x40
	s_mul_u64 s[8:9], s[8:9], s[14:15]
	v_mbcnt_lo_u32_b32 v3, -1, 0
	s_lshl_b64 s[20:21], s[8:9], 2
	s_wait_xcnt 0x0
	v_cmp_eq_u32_e64 s1, 0, v7
	s_lshl_b64 s[16:17], s[16:17], 2
	v_cmp_eq_u32_e64 s0, 0, v0
	v_dual_mov_b32 v5, 0x200c :: v_dual_lshlrev_b32 v2, 2, v0
	v_dual_mov_b32 v4, 0x2004 :: v_dual_mov_b32 v9, 0
	v_mov_b32_e32 v6, 0x2014
	v_lshl_or_b32 v8, v3, 2, 64
	s_add_nc_u64 s[6:7], s[6:7], s[20:21]
	s_wait_kmcnt 0x0
	s_mul_u64 s[8:9], s[18:19], s[14:15]
	v_mul_lo_u32 v7, v0, s5
	s_lshl_b64 s[8:9], s[8:9], 2
	s_cmp_gt_i32 s13, 1
	s_add_nc_u64 s[8:9], s[10:11], s[8:9]
	s_cselect_b32 s3, -1, 0
	s_add_nc_u64 s[8:9], s[8:9], s[16:17]
	s_lshl_b32 s14, s5, 8
	s_branch .LBB7_20
.LBB7_19:                               ;   in Loop: Header=BB7_20 Depth=1
	s_or_b32 exec_lo, exec_lo, s5
	s_add_co_i32 s4, s4, 64
	s_delay_alu instid0(SALU_CYCLE_1)
	s_cmp_ge_i32 s4, s12
	s_cbranch_scc1 .LBB7_37
.LBB7_20:                               ; =>This Loop Header: Depth=1
                                        ;     Child Loop BB7_22 Depth 2
                                        ;     Child Loop BB7_36 Depth 2
	s_ashr_i32 s5, s4, 31
	v_mov_b32_e32 v10, 0
	s_lshl_b64 s[10:11], s[4:5], 2
	s_delay_alu instid0(SALU_CYCLE_1)
	s_add_nc_u64 s[10:11], s[8:9], s[10:11]
	s_and_saveexec_b32 s5, s2
	s_cbranch_execz .LBB7_24
; %bb.21:                               ;   in Loop: Header=BB7_20 Depth=1
	v_dual_mov_b32 v10, 0 :: v_dual_mov_b32 v11, v7
	v_dual_mov_b32 v12, v2 :: v_dual_mov_b32 v13, v0
	s_mov_b32 s15, 0
.LBB7_22:                               ;   Parent Loop BB7_20 Depth=1
                                        ; =>  This Inner Loop Header: Depth=2
	global_load_b32 v14, v11, s[10:11] scale_offset
	ds_load_b32 v15, v12
	v_add_nc_u32_e32 v13, 0x100, v13
	v_add_nc_u32_e32 v12, 0x400, v12
	s_wait_loadcnt_dscnt 0x0
	s_wait_xcnt 0x0
	v_dual_fmac_f32 v10, v15, v14 :: v_dual_add_nc_u32 v11, s14, v11
	v_cmp_le_i32_e32 vcc_lo, s13, v13
	s_or_b32 s15, vcc_lo, s15
	s_delay_alu instid0(SALU_CYCLE_1)
	s_and_not1_b32 exec_lo, exec_lo, s15
	s_cbranch_execnz .LBB7_22
; %bb.23:                               ;   in Loop: Header=BB7_20 Depth=1
	s_or_b32 exec_lo, exec_lo, s15
.LBB7_24:                               ;   in Loop: Header=BB7_20 Depth=1
	s_delay_alu instid0(SALU_CYCLE_1) | instskip(NEXT) | instid1(SALU_CYCLE_1)
	s_or_b32 exec_lo, exec_lo, s5
	s_and_b32 vcc_lo, exec_lo, s3
	s_cbranch_vccz .LBB7_31
; %bb.25:                               ;   in Loop: Header=BB7_20 Depth=1
	v_cmp_ne_u32_e32 vcc_lo, 31, v3
	v_add_co_ci_u32_e64 v11, null, 0, v3, vcc_lo
	v_cmp_gt_u32_e32 vcc_lo, 30, v3
	s_delay_alu instid0(VALU_DEP_2)
	v_lshlrev_b32_e32 v11, 2, v11
	v_cndmask_b32_e64 v12, 0, 2, vcc_lo
	v_cmp_gt_u32_e32 vcc_lo, 28, v3
	ds_bpermute_b32 v11, v11, v10
	v_add_lshl_u32 v12, v12, v3, 2
	v_cndmask_b32_e64 v13, 0, 4, vcc_lo
	v_cmp_gt_u32_e32 vcc_lo, 24, v3
	s_delay_alu instid0(VALU_DEP_2)
	v_add_lshl_u32 v13, v13, v3, 2
	s_wait_dscnt 0x0
	v_add_f32_e32 v11, v10, v11
	ds_bpermute_b32 v12, v12, v11
	s_wait_dscnt 0x0
	v_add_f32_e32 v11, v11, v12
	ds_bpermute_b32 v12, v13, v11
	v_cndmask_b32_e64 v13, 0, 8, vcc_lo
	s_wait_dscnt 0x0
	v_add_f32_e32 v11, v11, v12
	s_delay_alu instid0(VALU_DEP_2)
	v_add_lshl_u32 v12, v13, v3, 2
	ds_bpermute_b32 v12, v12, v11
	s_wait_dscnt 0x0
	v_add_f32_e32 v11, v11, v12
	ds_bpermute_b32 v12, v8, v11
	s_wait_dscnt 0x0
	v_add_f32_e32 v11, v11, v12
	s_and_saveexec_b32 s5, s1
; %bb.26:                               ;   in Loop: Header=BB7_20 Depth=1
	ds_store_b32 v1, v11 offset:8192
; %bb.27:                               ;   in Loop: Header=BB7_20 Depth=1
	s_or_b32 exec_lo, exec_lo, s5
	s_mov_b32 s15, 0
	s_mov_b32 s5, 0
	s_wait_dscnt 0x0
	s_barrier_signal -1
	s_barrier_wait -1
                                        ; implicit-def: $vgpr12
	s_and_saveexec_b32 s16, s0
	s_delay_alu instid0(SALU_CYCLE_1)
	s_xor_b32 s16, exec_lo, s16
	s_cbranch_execz .LBB7_29
; %bb.28:                               ;   in Loop: Header=BB7_20 Depth=1
	ds_load_2addr_b32 v[12:13], v4 offset1:1
	ds_load_2addr_b32 v[14:15], v5 offset1:1
	;; [unrolled: 1-line block ×3, first 2 shown]
	ds_load_b32 v18, v9 offset:8220
	s_mov_b32 s5, exec_lo
	s_wait_dscnt 0x3
	v_add_f32_e32 v11, v11, v12
	s_delay_alu instid0(VALU_DEP_1) | instskip(SKIP_1) | instid1(VALU_DEP_1)
	v_add_f32_e32 v11, v11, v13
	s_wait_dscnt 0x2
	v_add_f32_e32 v11, v11, v14
	s_delay_alu instid0(VALU_DEP_1) | instskip(SKIP_1) | instid1(VALU_DEP_1)
	v_add_f32_e32 v11, v11, v15
	s_wait_dscnt 0x1
	v_add_f32_e32 v11, v11, v16
	s_delay_alu instid0(VALU_DEP_1) | instskip(SKIP_1) | instid1(VALU_DEP_1)
	v_add_f32_e32 v11, v11, v17
	s_wait_dscnt 0x0
	v_add_f32_e32 v12, v11, v18
.LBB7_29:                               ;   in Loop: Header=BB7_20 Depth=1
	s_or_b32 exec_lo, exec_lo, s16
	s_delay_alu instid0(SALU_CYCLE_1)
	s_and_b32 vcc_lo, exec_lo, s15
	s_cbranch_vccnz .LBB7_32
.LBB7_30:                               ;   in Loop: Header=BB7_20 Depth=1
	s_delay_alu instid0(VALU_DEP_1)
	v_mov_b32_e32 v10, v12
	s_and_saveexec_b32 s15, s5
	s_cbranch_execnz .LBB7_33
	s_branch .LBB7_34
.LBB7_31:                               ;   in Loop: Header=BB7_20 Depth=1
	s_mov_b32 s5, 0
                                        ; implicit-def: $vgpr12
	s_cbranch_execz .LBB7_30
.LBB7_32:                               ;   in Loop: Header=BB7_20 Depth=1
	s_and_not1_b32 s5, s5, exec_lo
	s_and_b32 s15, s0, exec_lo
	s_delay_alu instid0(SALU_CYCLE_1) | instskip(NEXT) | instid1(SALU_CYCLE_1)
	s_or_b32 s5, s5, s15
	s_and_saveexec_b32 s15, s5
.LBB7_33:                               ;   in Loop: Header=BB7_20 Depth=1
	ds_store_b32 v9, v10 offset:8192
.LBB7_34:                               ;   in Loop: Header=BB7_20 Depth=1
	s_or_b32 exec_lo, exec_lo, s15
	s_wait_dscnt 0x0
	s_barrier_signal -1
	s_barrier_wait -1
	s_and_saveexec_b32 s5, s2
	s_cbranch_execz .LBB7_19
; %bb.35:                               ;   in Loop: Header=BB7_20 Depth=1
	global_load_b32 v10, v9, s[6:7]
	ds_load_b32 v12, v9 offset:8192
	s_mov_b32 s15, 0
	v_mov_b32_e32 v11, v7
	s_wait_loadcnt 0x0
	v_xor_b32_e32 v13, 0x80000000, v10
	s_wait_dscnt 0x0
	s_delay_alu instid0(VALU_DEP_1)
	v_dual_mov_b32 v10, v2 :: v_dual_mul_f32 v12, v12, v13
	v_mov_b32_e32 v13, v0
.LBB7_36:                               ;   Parent Loop BB7_20 Depth=1
                                        ; =>  This Inner Loop Header: Depth=2
	global_load_b32 v14, v11, s[10:11] scale_offset
	ds_load_b32 v15, v10
	v_add_nc_u32_e32 v13, 0x100, v13
	v_add_nc_u32_e32 v10, 0x400, v10
	s_wait_loadcnt_dscnt 0x0
	v_fmac_f32_e32 v14, v12, v15
	s_delay_alu instid0(VALU_DEP_3) | instskip(SKIP_4) | instid1(SALU_CYCLE_1)
	v_cmp_le_i32_e32 vcc_lo, s13, v13
	global_store_b32 v11, v14, s[10:11] scale_offset
	s_wait_xcnt 0x0
	v_add_nc_u32_e32 v11, s14, v11
	s_or_b32 s15, vcc_lo, s15
	s_and_not1_b32 exec_lo, exec_lo, s15
	s_cbranch_execnz .LBB7_36
	s_branch .LBB7_19
.LBB7_37:
	s_endpgm
	.section	.rodata,"a",@progbits
	.p2align	6, 0x0
	.amdhsa_kernel _ZN9rocsolver6v33100L23larf_right_kernel_smallILi256EfiPfEEvT1_S3_T2_lS3_lPKT0_lS4_lS3_l
		.amdhsa_group_segment_fixed_size 8224
		.amdhsa_private_segment_fixed_size 0
		.amdhsa_kernarg_size 88
		.amdhsa_user_sgpr_count 2
		.amdhsa_user_sgpr_dispatch_ptr 0
		.amdhsa_user_sgpr_queue_ptr 0
		.amdhsa_user_sgpr_kernarg_segment_ptr 1
		.amdhsa_user_sgpr_dispatch_id 0
		.amdhsa_user_sgpr_kernarg_preload_length 0
		.amdhsa_user_sgpr_kernarg_preload_offset 0
		.amdhsa_user_sgpr_private_segment_size 0
		.amdhsa_wavefront_size32 1
		.amdhsa_uses_dynamic_stack 0
		.amdhsa_enable_private_segment 0
		.amdhsa_system_sgpr_workgroup_id_x 1
		.amdhsa_system_sgpr_workgroup_id_y 1
		.amdhsa_system_sgpr_workgroup_id_z 0
		.amdhsa_system_sgpr_workgroup_info 0
		.amdhsa_system_vgpr_workitem_id 0
		.amdhsa_next_free_vgpr 23
		.amdhsa_next_free_sgpr 28
		.amdhsa_named_barrier_count 0
		.amdhsa_reserve_vcc 1
		.amdhsa_float_round_mode_32 0
		.amdhsa_float_round_mode_16_64 0
		.amdhsa_float_denorm_mode_32 3
		.amdhsa_float_denorm_mode_16_64 3
		.amdhsa_fp16_overflow 0
		.amdhsa_memory_ordered 1
		.amdhsa_forward_progress 1
		.amdhsa_inst_pref_size 17
		.amdhsa_round_robin_scheduling 0
		.amdhsa_exception_fp_ieee_invalid_op 0
		.amdhsa_exception_fp_denorm_src 0
		.amdhsa_exception_fp_ieee_div_zero 0
		.amdhsa_exception_fp_ieee_overflow 0
		.amdhsa_exception_fp_ieee_underflow 0
		.amdhsa_exception_fp_ieee_inexact 0
		.amdhsa_exception_int_div_zero 0
	.end_amdhsa_kernel
	.section	.text._ZN9rocsolver6v33100L23larf_right_kernel_smallILi256EfiPfEEvT1_S3_T2_lS3_lPKT0_lS4_lS3_l,"axG",@progbits,_ZN9rocsolver6v33100L23larf_right_kernel_smallILi256EfiPfEEvT1_S3_T2_lS3_lPKT0_lS4_lS3_l,comdat
.Lfunc_end7:
	.size	_ZN9rocsolver6v33100L23larf_right_kernel_smallILi256EfiPfEEvT1_S3_T2_lS3_lPKT0_lS4_lS3_l, .Lfunc_end7-_ZN9rocsolver6v33100L23larf_right_kernel_smallILi256EfiPfEEvT1_S3_T2_lS3_lPKT0_lS4_lS3_l
                                        ; -- End function
	.set _ZN9rocsolver6v33100L23larf_right_kernel_smallILi256EfiPfEEvT1_S3_T2_lS3_lPKT0_lS4_lS3_l.num_vgpr, 23
	.set _ZN9rocsolver6v33100L23larf_right_kernel_smallILi256EfiPfEEvT1_S3_T2_lS3_lPKT0_lS4_lS3_l.num_agpr, 0
	.set _ZN9rocsolver6v33100L23larf_right_kernel_smallILi256EfiPfEEvT1_S3_T2_lS3_lPKT0_lS4_lS3_l.numbered_sgpr, 28
	.set _ZN9rocsolver6v33100L23larf_right_kernel_smallILi256EfiPfEEvT1_S3_T2_lS3_lPKT0_lS4_lS3_l.num_named_barrier, 0
	.set _ZN9rocsolver6v33100L23larf_right_kernel_smallILi256EfiPfEEvT1_S3_T2_lS3_lPKT0_lS4_lS3_l.private_seg_size, 0
	.set _ZN9rocsolver6v33100L23larf_right_kernel_smallILi256EfiPfEEvT1_S3_T2_lS3_lPKT0_lS4_lS3_l.uses_vcc, 1
	.set _ZN9rocsolver6v33100L23larf_right_kernel_smallILi256EfiPfEEvT1_S3_T2_lS3_lPKT0_lS4_lS3_l.uses_flat_scratch, 0
	.set _ZN9rocsolver6v33100L23larf_right_kernel_smallILi256EfiPfEEvT1_S3_T2_lS3_lPKT0_lS4_lS3_l.has_dyn_sized_stack, 0
	.set _ZN9rocsolver6v33100L23larf_right_kernel_smallILi256EfiPfEEvT1_S3_T2_lS3_lPKT0_lS4_lS3_l.has_recursion, 0
	.set _ZN9rocsolver6v33100L23larf_right_kernel_smallILi256EfiPfEEvT1_S3_T2_lS3_lPKT0_lS4_lS3_l.has_indirect_call, 0
	.section	.AMDGPU.csdata,"",@progbits
; Kernel info:
; codeLenInByte = 2052
; TotalNumSgprs: 30
; NumVgprs: 23
; ScratchSize: 0
; MemoryBound: 0
; FloatMode: 240
; IeeeMode: 1
; LDSByteSize: 8224 bytes/workgroup (compile time only)
; SGPRBlocks: 0
; VGPRBlocks: 1
; NumSGPRsForWavesPerEU: 30
; NumVGPRsForWavesPerEU: 23
; NamedBarCnt: 0
; Occupancy: 16
; WaveLimiterHint : 0
; COMPUTE_PGM_RSRC2:SCRATCH_EN: 0
; COMPUTE_PGM_RSRC2:USER_SGPR: 2
; COMPUTE_PGM_RSRC2:TRAP_HANDLER: 0
; COMPUTE_PGM_RSRC2:TGID_X_EN: 1
; COMPUTE_PGM_RSRC2:TGID_Y_EN: 1
; COMPUTE_PGM_RSRC2:TGID_Z_EN: 0
; COMPUTE_PGM_RSRC2:TIDIG_COMP_CNT: 0
	.section	.text._ZN9rocsolver6v33100L23larf_right_kernel_smallILi512EfiPfEEvT1_S3_T2_lS3_lPKT0_lS4_lS3_l,"axG",@progbits,_ZN9rocsolver6v33100L23larf_right_kernel_smallILi512EfiPfEEvT1_S3_T2_lS3_lPKT0_lS4_lS3_l,comdat
	.globl	_ZN9rocsolver6v33100L23larf_right_kernel_smallILi512EfiPfEEvT1_S3_T2_lS3_lPKT0_lS4_lS3_l ; -- Begin function _ZN9rocsolver6v33100L23larf_right_kernel_smallILi512EfiPfEEvT1_S3_T2_lS3_lPKT0_lS4_lS3_l
	.p2align	8
	.type	_ZN9rocsolver6v33100L23larf_right_kernel_smallILi512EfiPfEEvT1_S3_T2_lS3_lPKT0_lS4_lS3_l,@function
_ZN9rocsolver6v33100L23larf_right_kernel_smallILi512EfiPfEEvT1_S3_T2_lS3_lPKT0_lS4_lS3_l: ; @_ZN9rocsolver6v33100L23larf_right_kernel_smallILi512EfiPfEEvT1_S3_T2_lS3_lPKT0_lS4_lS3_l
; %bb.0:
	s_clause 0x2
	s_load_b64 s[12:13], s[0:1], 0x0
	s_load_b256 s[4:11], s[0:1], 0x20
	s_load_b64 s[16:17], s[0:1], 0x40
	s_bfe_u32 s2, ttmp6, 0x4000c
	s_and_b32 s3, ttmp6, 15
	s_add_co_i32 s2, s2, 1
	s_getreg_b32 s18, hwreg(HW_REG_IB_STS2, 6, 4)
	s_mul_i32 s2, ttmp9, s2
	s_delay_alu instid0(SALU_CYCLE_1)
	s_add_co_i32 s3, s3, s2
	s_cmp_eq_u32 s18, 0
	s_cselect_b32 s14, ttmp9, s3
	s_mov_b32 s3, 0
	s_ashr_i32 s15, s14, 31
	s_wait_kmcnt 0x0
	v_cmp_gt_i32_e64 s2, s13, v0
	s_and_saveexec_b32 s19, s2
	s_cbranch_execz .LBB8_17
; %bb.1:
	s_clause 0x1
	s_load_b128 s[24:27], s[0:1], 0x8
	s_load_b32 s20, s[0:1], 0x18
	s_mul_u64 s[4:5], s[4:5], s[14:15]
	s_sub_co_i32 s21, 1, s13
	s_lshl_b64 s[4:5], s[4:5], 2
	v_xad_u32 v3, v0, -1, s13
                                        ; implicit-def: $vgpr1
                                        ; implicit-def: $vgpr2
	s_wait_kmcnt 0x0
	s_lshl_b64 s[22:23], s[26:27], 2
	s_add_nc_u64 s[4:5], s[24:25], s[4:5]
	s_mul_i32 s21, s20, s21
	s_cmp_lt_i32 s20, 1
	s_add_nc_u64 s[4:5], s[4:5], s[22:23]
	s_cselect_b32 s21, s21, 0
	s_mov_b32 s24, -1
	s_mov_b32 s22, exec_lo
	v_cmpx_lt_u32_e32 0x31ff, v3
	s_xor_b32 s22, exec_lo, s22
	s_cbranch_execnz .LBB8_4
; %bb.2:
	s_and_not1_saveexec_b32 s22, s22
	s_cbranch_execnz .LBB8_14
.LBB8_3:
	s_or_b32 exec_lo, exec_lo, s22
	s_delay_alu instid0(SALU_CYCLE_1)
	s_and_b32 exec_lo, exec_lo, s3
	s_cbranch_execnz .LBB8_15
	s_branch .LBB8_17
.LBB8_4:
	s_lshl_b32 s23, s20, 9
	v_mad_u32 v1, v0, s20, s21
	s_sub_co_i32 s3, 0, s23
	s_cmp_lt_i32 s23, 0
	v_lshrrev_b32_e32 v4, 9, v3
	s_cselect_b32 vcc_lo, -1, 0
	s_delay_alu instid0(SALU_CYCLE_1)
	s_and_b32 s25, vcc_lo, exec_lo
	s_cselect_b32 s25, s3, s23
	s_delay_alu instid0(VALU_DEP_1) | instid1(SALU_CYCLE_1)
	v_mul_lo_u32 v2, s25, v4
	s_delay_alu instid0(VALU_DEP_1) | instskip(NEXT) | instid1(VALU_DEP_1)
	v_sub_nc_u32_e32 v3, v1, v2
	v_cmp_gt_i32_e64 s3, v3, v1
	s_delay_alu instid0(VALU_DEP_1) | instskip(SKIP_1) | instid1(VALU_DEP_1)
	v_cndmask_b32_e64 v3, 0, 1, s3
	v_add_nc_u32_e32 v2, v1, v2
	v_cmp_lt_i32_e64 s3, v2, v1
	v_mul_hi_u32 v2, s25, v4
	s_delay_alu instid0(VALU_DEP_2) | instskip(NEXT) | instid1(VALU_DEP_1)
	v_cndmask_b32_e64 v1, 0, 1, s3
	v_cndmask_b32_e32 v1, v1, v3, vcc_lo
	s_delay_alu instid0(VALU_DEP_3) | instskip(NEXT) | instid1(VALU_DEP_2)
	v_cmp_eq_u32_e64 s3, 0, v2
	v_and_b32_e32 v1, 1, v1
	s_delay_alu instid0(VALU_DEP_1) | instskip(SKIP_2) | instid1(SALU_CYCLE_1)
	v_cmp_eq_u32_e32 vcc_lo, 1, v1
	v_mov_b32_e32 v1, v0
	s_xor_b32 s25, vcc_lo, -1
	s_and_b32 s25, s25, s3
	s_delay_alu instid0(SALU_CYCLE_1)
	s_and_saveexec_b32 s3, s25
	s_cbranch_execz .LBB8_13
; %bb.5:
	v_dual_add_nc_u32 v2, -1, v4 :: v_dual_mov_b32 v8, 0
	v_or_b32_e32 v1, 0x200, v0
	s_delay_alu instid0(VALU_DEP_2) | instskip(SKIP_1) | instid1(VALU_DEP_2)
	v_lshrrev_b32_e32 v3, 1, v2
	v_cmp_lt_u32_e32 vcc_lo, 5, v2
	v_add_nc_u32_e32 v5, 1, v3
	s_delay_alu instid0(VALU_DEP_4)
	v_mov_b64_e32 v[2:3], v[0:1]
	s_and_saveexec_b32 s24, vcc_lo
	s_cbranch_execz .LBB8_9
; %bb.6:
	v_mov_b64_e32 v[2:3], v[0:1]
	v_dual_lshlrev_b32 v7, 2, v0 :: v_dual_bitop2_b32 v6, -4, v5 bitop3:0x40
	s_mov_b32 s25, 0
	s_mov_b32 s26, 0
.LBB8_7:                                ; =>This Inner Loop Header: Depth=1
	s_delay_alu instid0(VALU_DEP_2)
	v_add_nc_u32_e32 v10, 0xc00, v3
	v_add_nc_u32_e32 v11, 0x800, v3
	v_add_nc_u32_e32 v12, 0x400, v3
	v_mad_u32 v8, v2, s20, s21
	s_add_co_i32 s26, s26, 8
	v_add_nc_u32_e32 v9, 0x400, v2
	v_add_nc_u32_e32 v13, 0x800, v2
	v_mad_u32 v10, v10, s20, s21
	v_add_nc_u32_e32 v14, 0xc00, v2
	v_mad_u32 v11, v11, s20, s21
	v_mad_u32 v12, v12, s20, s21
	;; [unrolled: 1-line block ×6, first 2 shown]
	s_clause 0x7
	global_load_b32 v15, v8, s[4:5] scale_offset
	global_load_b32 v16, v10, s[4:5] scale_offset
	;; [unrolled: 1-line block ×8, first 2 shown]
	v_add_nc_u32_e32 v6, -4, v6
	v_add_nc_u32_e32 v3, 0x1000, v3
	v_add_nc_u32_e32 v2, 0x1000, v2
	s_wait_xcnt 0x7
	v_mov_b32_e32 v8, s26
	s_wait_loadcnt 0x3
	ds_store_2addr_stride64_b32 v7, v15, v19 offset1:8
	s_wait_loadcnt 0x2
	ds_store_2addr_stride64_b32 v7, v20, v18 offset0:16 offset1:24
	s_wait_loadcnt 0x1
	ds_store_2addr_stride64_b32 v7, v21, v17 offset0:32 offset1:40
	;; [unrolled: 2-line block ×3, first 2 shown]
	v_cmp_eq_u32_e32 vcc_lo, 0, v6
	v_add_nc_u32_e32 v7, 0x4000, v7
	s_or_b32 s25, vcc_lo, s25
	s_wait_xcnt 0x0
	s_and_not1_b32 exec_lo, exec_lo, s25
	s_cbranch_execnz .LBB8_7
; %bb.8:
	s_or_b32 exec_lo, exec_lo, s25
.LBB8_9:
	s_delay_alu instid0(SALU_CYCLE_1) | instskip(SKIP_3) | instid1(VALU_DEP_1)
	s_or_b32 exec_lo, exec_lo, s24
	v_and_b32_e32 v1, 3, v5
	s_mov_b32 s25, 0
	s_mov_b32 s24, exec_lo
	v_cmpx_ne_u32_e32 0, v1
	s_cbranch_execz .LBB8_12
; %bb.10:
	v_lshlrev_b32_e32 v5, 2, v0
	s_delay_alu instid0(VALU_DEP_1)
	v_lshl_or_b32 v5, v8, 11, v5
.LBB8_11:                               ; =>This Inner Loop Header: Depth=1
	v_mad_u32 v6, v2, s20, s21
	v_mad_u32 v7, v3, s20, s21
	v_add_nc_u32_e32 v1, -1, v1
	v_add_nc_u32_e32 v3, 0x400, v3
	v_add_nc_u32_e32 v2, 0x400, v2
	s_clause 0x1
	global_load_b32 v8, v6, s[4:5] scale_offset
	global_load_b32 v9, v7, s[4:5] scale_offset
	v_cmp_eq_u32_e32 vcc_lo, 0, v1
	s_or_b32 s25, vcc_lo, s25
	s_wait_loadcnt 0x0
	ds_store_2addr_stride64_b32 v5, v8, v9 offset1:8
	v_add_nc_u32_e32 v5, 0x1000, v5
	s_and_not1_b32 exec_lo, exec_lo, s25
	s_cbranch_execnz .LBB8_11
.LBB8_12:
	s_or_b32 exec_lo, exec_lo, s24
	v_add_nc_u32_e32 v1, 1, v4
	s_delay_alu instid0(VALU_DEP_1) | instskip(NEXT) | instid1(VALU_DEP_1)
	v_and_b32_e32 v2, 0xfffffe, v1
	v_cmp_ne_u32_e32 vcc_lo, v1, v2
	v_lshl_or_b32 v1, v2, 9, v0
	s_or_not1_b32 s24, vcc_lo, exec_lo
.LBB8_13:
	s_or_b32 exec_lo, exec_lo, s3
	v_mov_b32_e32 v2, s23
	s_and_b32 s3, s24, exec_lo
	s_and_not1_saveexec_b32 s22, s22
	s_cbranch_execz .LBB8_3
.LBB8_14:
	s_lshl_b32 s23, s20, 9
	s_or_b32 s3, s3, exec_lo
	v_dual_mov_b32 v2, s23 :: v_dual_mov_b32 v1, v0
	s_or_b32 exec_lo, exec_lo, s22
	s_delay_alu instid0(SALU_CYCLE_1)
	s_and_b32 exec_lo, exec_lo, s3
	s_cbranch_execz .LBB8_17
.LBB8_15:
	s_delay_alu instid0(VALU_DEP_1)
	v_mad_u32 v3, v1, s20, s21
	v_lshlrev_b32_e32 v4, 2, v1
	s_mov_b32 s3, 0
.LBB8_16:                               ; =>This Inner Loop Header: Depth=1
	global_load_b32 v5, v3, s[4:5] scale_offset
	v_add_nc_u32_e32 v1, 0x200, v1
	s_wait_xcnt 0x0
	v_add_nc_u32_e32 v3, v3, v2
	s_delay_alu instid0(VALU_DEP_2)
	v_cmp_le_i32_e32 vcc_lo, s13, v1
	s_or_b32 s3, vcc_lo, s3
	s_wait_loadcnt 0x0
	ds_store_b32 v4, v5
	v_add_nc_u32_e32 v4, 0x800, v4
	s_and_not1_b32 exec_lo, exec_lo, s3
	s_cbranch_execnz .LBB8_16
.LBB8_17:
	s_or_b32 exec_lo, exec_lo, s19
	s_bfe_u32 s3, ttmp6, 0x40010
	s_bfe_u32 s4, ttmp6, 0x40004
	s_add_co_i32 s3, s3, 1
	s_wait_dscnt 0x0
	s_mul_i32 s3, ttmp7, s3
	s_barrier_signal -1
	s_add_co_i32 s4, s4, s3
	s_cmp_eq_u32 s18, 0
	s_barrier_wait -1
	s_cselect_b32 s4, ttmp7, s4
	s_delay_alu instid0(SALU_CYCLE_1)
	s_cmp_ge_i32 s4, s12
	s_cbranch_scc1 .LBB8_37
; %bb.18:
	s_clause 0x1
	s_load_b64 s[18:19], s[0:1], 0x50
	s_load_b32 s5, s[0:1], 0x48
	v_dual_lshrrev_b32 v1, 3, v0 :: v_dual_bitop2_b32 v11, 31, v0 bitop3:0x40
	s_mul_u64 s[8:9], s[8:9], s[14:15]
	v_mbcnt_lo_u32_b32 v3, -1, 0
	s_lshl_b64 s[20:21], s[8:9], 2
	s_wait_xcnt 0x0
	v_cmp_eq_u32_e64 s1, 0, v11
	s_lshl_b64 s[16:17], s[16:17], 2
	v_cmp_eq_u32_e64 s0, 0, v0
	v_dual_mov_b32 v5, 0x200c :: v_dual_lshlrev_b32 v2, 2, v0
	v_dual_mov_b32 v4, 0x2004 :: v_dual_mov_b32 v13, 0
	v_mov_b32_e32 v6, 0x2014
	v_mov_b32_e32 v7, 0x201c
	;; [unrolled: 1-line block ×5, first 2 shown]
	v_lshl_or_b32 v12, v3, 2, 64
	s_wait_kmcnt 0x0
	s_mul_u64 s[8:9], s[18:19], s[14:15]
	v_mul_lo_u32 v11, v0, s5
	s_lshl_b64 s[8:9], s[8:9], 2
	s_cmp_gt_i32 s13, 1
	s_add_nc_u64 s[8:9], s[10:11], s[8:9]
	s_add_nc_u64 s[6:7], s[6:7], s[20:21]
	;; [unrolled: 1-line block ×3, first 2 shown]
	s_cselect_b32 s3, -1, 0
	s_lshl_b32 s14, s5, 9
	s_branch .LBB8_20
.LBB8_19:                               ;   in Loop: Header=BB8_20 Depth=1
	s_or_b32 exec_lo, exec_lo, s5
	s_add_co_i32 s4, s4, 64
	s_delay_alu instid0(SALU_CYCLE_1)
	s_cmp_ge_i32 s4, s12
	s_cbranch_scc1 .LBB8_37
.LBB8_20:                               ; =>This Loop Header: Depth=1
                                        ;     Child Loop BB8_22 Depth 2
                                        ;     Child Loop BB8_36 Depth 2
	s_ashr_i32 s5, s4, 31
	v_mov_b32_e32 v14, 0
	s_lshl_b64 s[10:11], s[4:5], 2
	s_delay_alu instid0(SALU_CYCLE_1)
	s_add_nc_u64 s[10:11], s[8:9], s[10:11]
	s_and_saveexec_b32 s5, s2
	s_cbranch_execz .LBB8_24
; %bb.21:                               ;   in Loop: Header=BB8_20 Depth=1
	v_dual_mov_b32 v14, 0 :: v_dual_mov_b32 v15, v11
	v_dual_mov_b32 v16, v2 :: v_dual_mov_b32 v17, v0
	s_mov_b32 s15, 0
.LBB8_22:                               ;   Parent Loop BB8_20 Depth=1
                                        ; =>  This Inner Loop Header: Depth=2
	global_load_b32 v18, v15, s[10:11] scale_offset
	ds_load_b32 v19, v16
	v_add_nc_u32_e32 v17, 0x200, v17
	v_add_nc_u32_e32 v16, 0x800, v16
	s_wait_loadcnt_dscnt 0x0
	s_wait_xcnt 0x0
	v_dual_fmac_f32 v14, v19, v18 :: v_dual_add_nc_u32 v15, s14, v15
	v_cmp_le_i32_e32 vcc_lo, s13, v17
	s_or_b32 s15, vcc_lo, s15
	s_delay_alu instid0(SALU_CYCLE_1)
	s_and_not1_b32 exec_lo, exec_lo, s15
	s_cbranch_execnz .LBB8_22
; %bb.23:                               ;   in Loop: Header=BB8_20 Depth=1
	s_or_b32 exec_lo, exec_lo, s15
.LBB8_24:                               ;   in Loop: Header=BB8_20 Depth=1
	s_delay_alu instid0(SALU_CYCLE_1) | instskip(NEXT) | instid1(SALU_CYCLE_1)
	s_or_b32 exec_lo, exec_lo, s5
	s_and_b32 vcc_lo, exec_lo, s3
	s_cbranch_vccz .LBB8_31
; %bb.25:                               ;   in Loop: Header=BB8_20 Depth=1
	v_cmp_ne_u32_e32 vcc_lo, 31, v3
	v_add_co_ci_u32_e64 v15, null, 0, v3, vcc_lo
	v_cmp_gt_u32_e32 vcc_lo, 30, v3
	s_delay_alu instid0(VALU_DEP_2)
	v_lshlrev_b32_e32 v15, 2, v15
	v_cndmask_b32_e64 v16, 0, 2, vcc_lo
	v_cmp_gt_u32_e32 vcc_lo, 28, v3
	ds_bpermute_b32 v15, v15, v14
	v_add_lshl_u32 v16, v16, v3, 2
	v_cndmask_b32_e64 v17, 0, 4, vcc_lo
	v_cmp_gt_u32_e32 vcc_lo, 24, v3
	s_delay_alu instid0(VALU_DEP_2)
	v_add_lshl_u32 v17, v17, v3, 2
	s_wait_dscnt 0x0
	v_add_f32_e32 v15, v14, v15
	ds_bpermute_b32 v16, v16, v15
	s_wait_dscnt 0x0
	v_add_f32_e32 v15, v15, v16
	ds_bpermute_b32 v16, v17, v15
	v_cndmask_b32_e64 v17, 0, 8, vcc_lo
	s_wait_dscnt 0x0
	v_add_f32_e32 v15, v15, v16
	s_delay_alu instid0(VALU_DEP_2)
	v_add_lshl_u32 v16, v17, v3, 2
	ds_bpermute_b32 v16, v16, v15
	s_wait_dscnt 0x0
	v_add_f32_e32 v15, v15, v16
	ds_bpermute_b32 v16, v12, v15
	s_wait_dscnt 0x0
	v_add_f32_e32 v15, v15, v16
	s_and_saveexec_b32 s5, s1
; %bb.26:                               ;   in Loop: Header=BB8_20 Depth=1
	ds_store_b32 v1, v15 offset:8192
; %bb.27:                               ;   in Loop: Header=BB8_20 Depth=1
	s_or_b32 exec_lo, exec_lo, s5
	s_mov_b32 s15, 0
	s_mov_b32 s5, 0
	s_wait_dscnt 0x0
	s_barrier_signal -1
	s_barrier_wait -1
                                        ; implicit-def: $vgpr16
	s_and_saveexec_b32 s16, s0
	s_delay_alu instid0(SALU_CYCLE_1)
	s_xor_b32 s16, exec_lo, s16
	s_cbranch_execz .LBB8_29
; %bb.28:                               ;   in Loop: Header=BB8_20 Depth=1
	ds_load_2addr_b32 v[16:17], v4 offset1:1
	ds_load_2addr_b32 v[18:19], v5 offset1:1
	;; [unrolled: 1-line block ×4, first 2 shown]
	s_mov_b32 s5, exec_lo
	s_wait_dscnt 0x3
	v_add_f32_e32 v15, v15, v16
	s_delay_alu instid0(VALU_DEP_1) | instskip(SKIP_3) | instid1(VALU_DEP_1)
	v_add_f32_e32 v15, v15, v17
	ds_load_2addr_b32 v[16:17], v8 offset1:1
	s_wait_dscnt 0x3
	v_add_f32_e32 v15, v15, v18
	v_add_f32_e32 v15, v15, v19
	ds_load_2addr_b32 v[18:19], v9 offset1:1
	s_wait_dscnt 0x3
	v_add_f32_e32 v15, v15, v20
	s_delay_alu instid0(VALU_DEP_1) | instskip(SKIP_1) | instid1(VALU_DEP_1)
	v_add_f32_e32 v15, v15, v21
	s_wait_dscnt 0x2
	v_add_f32_e32 v15, v15, v22
	ds_load_2addr_b32 v[20:21], v10 offset1:1
	ds_load_b32 v22, v13 offset:8252
	v_add_f32_e32 v15, v15, v23
	s_wait_dscnt 0x3
	s_delay_alu instid0(VALU_DEP_1) | instskip(NEXT) | instid1(VALU_DEP_1)
	v_add_f32_e32 v15, v15, v16
	v_add_f32_e32 v15, v15, v17
	s_wait_dscnt 0x2
	s_delay_alu instid0(VALU_DEP_1) | instskip(NEXT) | instid1(VALU_DEP_1)
	v_add_f32_e32 v15, v15, v18
	;; [unrolled: 4-line block ×3, first 2 shown]
	v_add_f32_e32 v15, v15, v21
	s_wait_dscnt 0x0
	s_delay_alu instid0(VALU_DEP_1)
	v_add_f32_e32 v16, v15, v22
.LBB8_29:                               ;   in Loop: Header=BB8_20 Depth=1
	s_or_b32 exec_lo, exec_lo, s16
	s_delay_alu instid0(SALU_CYCLE_1)
	s_and_b32 vcc_lo, exec_lo, s15
	s_cbranch_vccnz .LBB8_32
.LBB8_30:                               ;   in Loop: Header=BB8_20 Depth=1
	s_delay_alu instid0(VALU_DEP_1)
	v_mov_b32_e32 v14, v16
	s_and_saveexec_b32 s15, s5
	s_cbranch_execnz .LBB8_33
	s_branch .LBB8_34
.LBB8_31:                               ;   in Loop: Header=BB8_20 Depth=1
	s_mov_b32 s5, 0
                                        ; implicit-def: $vgpr16
	s_cbranch_execz .LBB8_30
.LBB8_32:                               ;   in Loop: Header=BB8_20 Depth=1
	s_and_not1_b32 s5, s5, exec_lo
	s_and_b32 s15, s0, exec_lo
	s_delay_alu instid0(SALU_CYCLE_1) | instskip(NEXT) | instid1(SALU_CYCLE_1)
	s_or_b32 s5, s5, s15
	s_and_saveexec_b32 s15, s5
.LBB8_33:                               ;   in Loop: Header=BB8_20 Depth=1
	ds_store_b32 v13, v14 offset:8192
.LBB8_34:                               ;   in Loop: Header=BB8_20 Depth=1
	s_or_b32 exec_lo, exec_lo, s15
	s_wait_dscnt 0x0
	s_barrier_signal -1
	s_barrier_wait -1
	s_and_saveexec_b32 s5, s2
	s_cbranch_execz .LBB8_19
; %bb.35:                               ;   in Loop: Header=BB8_20 Depth=1
	global_load_b32 v14, v13, s[6:7]
	ds_load_b32 v16, v13 offset:8192
	s_mov_b32 s15, 0
	v_mov_b32_e32 v15, v11
	s_wait_loadcnt 0x0
	v_xor_b32_e32 v17, 0x80000000, v14
	s_wait_dscnt 0x0
	s_delay_alu instid0(VALU_DEP_1)
	v_dual_mov_b32 v14, v2 :: v_dual_mul_f32 v16, v16, v17
	v_mov_b32_e32 v17, v0
.LBB8_36:                               ;   Parent Loop BB8_20 Depth=1
                                        ; =>  This Inner Loop Header: Depth=2
	global_load_b32 v18, v15, s[10:11] scale_offset
	ds_load_b32 v19, v14
	v_add_nc_u32_e32 v17, 0x200, v17
	v_add_nc_u32_e32 v14, 0x800, v14
	s_wait_loadcnt_dscnt 0x0
	v_fmac_f32_e32 v18, v16, v19
	s_delay_alu instid0(VALU_DEP_3) | instskip(SKIP_4) | instid1(SALU_CYCLE_1)
	v_cmp_le_i32_e32 vcc_lo, s13, v17
	global_store_b32 v15, v18, s[10:11] scale_offset
	s_wait_xcnt 0x0
	v_add_nc_u32_e32 v15, s14, v15
	s_or_b32 s15, vcc_lo, s15
	s_and_not1_b32 exec_lo, exec_lo, s15
	s_cbranch_execnz .LBB8_36
	s_branch .LBB8_19
.LBB8_37:
	s_endpgm
	.section	.rodata,"a",@progbits
	.p2align	6, 0x0
	.amdhsa_kernel _ZN9rocsolver6v33100L23larf_right_kernel_smallILi512EfiPfEEvT1_S3_T2_lS3_lPKT0_lS4_lS3_l
		.amdhsa_group_segment_fixed_size 8256
		.amdhsa_private_segment_fixed_size 0
		.amdhsa_kernarg_size 88
		.amdhsa_user_sgpr_count 2
		.amdhsa_user_sgpr_dispatch_ptr 0
		.amdhsa_user_sgpr_queue_ptr 0
		.amdhsa_user_sgpr_kernarg_segment_ptr 1
		.amdhsa_user_sgpr_dispatch_id 0
		.amdhsa_user_sgpr_kernarg_preload_length 0
		.amdhsa_user_sgpr_kernarg_preload_offset 0
		.amdhsa_user_sgpr_private_segment_size 0
		.amdhsa_wavefront_size32 1
		.amdhsa_uses_dynamic_stack 0
		.amdhsa_enable_private_segment 0
		.amdhsa_system_sgpr_workgroup_id_x 1
		.amdhsa_system_sgpr_workgroup_id_y 1
		.amdhsa_system_sgpr_workgroup_id_z 0
		.amdhsa_system_sgpr_workgroup_info 0
		.amdhsa_system_vgpr_workitem_id 0
		.amdhsa_next_free_vgpr 24
		.amdhsa_next_free_sgpr 28
		.amdhsa_named_barrier_count 0
		.amdhsa_reserve_vcc 1
		.amdhsa_float_round_mode_32 0
		.amdhsa_float_round_mode_16_64 0
		.amdhsa_float_denorm_mode_32 3
		.amdhsa_float_denorm_mode_16_64 3
		.amdhsa_fp16_overflow 0
		.amdhsa_memory_ordered 1
		.amdhsa_forward_progress 1
		.amdhsa_inst_pref_size 17
		.amdhsa_round_robin_scheduling 0
		.amdhsa_exception_fp_ieee_invalid_op 0
		.amdhsa_exception_fp_denorm_src 0
		.amdhsa_exception_fp_ieee_div_zero 0
		.amdhsa_exception_fp_ieee_overflow 0
		.amdhsa_exception_fp_ieee_underflow 0
		.amdhsa_exception_fp_ieee_inexact 0
		.amdhsa_exception_int_div_zero 0
	.end_amdhsa_kernel
	.section	.text._ZN9rocsolver6v33100L23larf_right_kernel_smallILi512EfiPfEEvT1_S3_T2_lS3_lPKT0_lS4_lS3_l,"axG",@progbits,_ZN9rocsolver6v33100L23larf_right_kernel_smallILi512EfiPfEEvT1_S3_T2_lS3_lPKT0_lS4_lS3_l,comdat
.Lfunc_end8:
	.size	_ZN9rocsolver6v33100L23larf_right_kernel_smallILi512EfiPfEEvT1_S3_T2_lS3_lPKT0_lS4_lS3_l, .Lfunc_end8-_ZN9rocsolver6v33100L23larf_right_kernel_smallILi512EfiPfEEvT1_S3_T2_lS3_lPKT0_lS4_lS3_l
                                        ; -- End function
	.set _ZN9rocsolver6v33100L23larf_right_kernel_smallILi512EfiPfEEvT1_S3_T2_lS3_lPKT0_lS4_lS3_l.num_vgpr, 24
	.set _ZN9rocsolver6v33100L23larf_right_kernel_smallILi512EfiPfEEvT1_S3_T2_lS3_lPKT0_lS4_lS3_l.num_agpr, 0
	.set _ZN9rocsolver6v33100L23larf_right_kernel_smallILi512EfiPfEEvT1_S3_T2_lS3_lPKT0_lS4_lS3_l.numbered_sgpr, 28
	.set _ZN9rocsolver6v33100L23larf_right_kernel_smallILi512EfiPfEEvT1_S3_T2_lS3_lPKT0_lS4_lS3_l.num_named_barrier, 0
	.set _ZN9rocsolver6v33100L23larf_right_kernel_smallILi512EfiPfEEvT1_S3_T2_lS3_lPKT0_lS4_lS3_l.private_seg_size, 0
	.set _ZN9rocsolver6v33100L23larf_right_kernel_smallILi512EfiPfEEvT1_S3_T2_lS3_lPKT0_lS4_lS3_l.uses_vcc, 1
	.set _ZN9rocsolver6v33100L23larf_right_kernel_smallILi512EfiPfEEvT1_S3_T2_lS3_lPKT0_lS4_lS3_l.uses_flat_scratch, 0
	.set _ZN9rocsolver6v33100L23larf_right_kernel_smallILi512EfiPfEEvT1_S3_T2_lS3_lPKT0_lS4_lS3_l.has_dyn_sized_stack, 0
	.set _ZN9rocsolver6v33100L23larf_right_kernel_smallILi512EfiPfEEvT1_S3_T2_lS3_lPKT0_lS4_lS3_l.has_recursion, 0
	.set _ZN9rocsolver6v33100L23larf_right_kernel_smallILi512EfiPfEEvT1_S3_T2_lS3_lPKT0_lS4_lS3_l.has_indirect_call, 0
	.section	.AMDGPU.csdata,"",@progbits
; Kernel info:
; codeLenInByte = 2176
; TotalNumSgprs: 30
; NumVgprs: 24
; ScratchSize: 0
; MemoryBound: 0
; FloatMode: 240
; IeeeMode: 1
; LDSByteSize: 8256 bytes/workgroup (compile time only)
; SGPRBlocks: 0
; VGPRBlocks: 1
; NumSGPRsForWavesPerEU: 30
; NumVGPRsForWavesPerEU: 24
; NamedBarCnt: 0
; Occupancy: 16
; WaveLimiterHint : 0
; COMPUTE_PGM_RSRC2:SCRATCH_EN: 0
; COMPUTE_PGM_RSRC2:USER_SGPR: 2
; COMPUTE_PGM_RSRC2:TRAP_HANDLER: 0
; COMPUTE_PGM_RSRC2:TGID_X_EN: 1
; COMPUTE_PGM_RSRC2:TGID_Y_EN: 1
; COMPUTE_PGM_RSRC2:TGID_Z_EN: 0
; COMPUTE_PGM_RSRC2:TIDIG_COMP_CNT: 0
	.section	.text._ZN9rocsolver6v33100L23larf_right_kernel_smallILi1024EfiPfEEvT1_S3_T2_lS3_lPKT0_lS4_lS3_l,"axG",@progbits,_ZN9rocsolver6v33100L23larf_right_kernel_smallILi1024EfiPfEEvT1_S3_T2_lS3_lPKT0_lS4_lS3_l,comdat
	.globl	_ZN9rocsolver6v33100L23larf_right_kernel_smallILi1024EfiPfEEvT1_S3_T2_lS3_lPKT0_lS4_lS3_l ; -- Begin function _ZN9rocsolver6v33100L23larf_right_kernel_smallILi1024EfiPfEEvT1_S3_T2_lS3_lPKT0_lS4_lS3_l
	.p2align	8
	.type	_ZN9rocsolver6v33100L23larf_right_kernel_smallILi1024EfiPfEEvT1_S3_T2_lS3_lPKT0_lS4_lS3_l,@function
_ZN9rocsolver6v33100L23larf_right_kernel_smallILi1024EfiPfEEvT1_S3_T2_lS3_lPKT0_lS4_lS3_l: ; @_ZN9rocsolver6v33100L23larf_right_kernel_smallILi1024EfiPfEEvT1_S3_T2_lS3_lPKT0_lS4_lS3_l
; %bb.0:
	s_clause 0x2
	s_load_b64 s[12:13], s[0:1], 0x0
	s_load_b256 s[4:11], s[0:1], 0x20
	s_load_b64 s[16:17], s[0:1], 0x40
	s_bfe_u32 s2, ttmp6, 0x4000c
	s_and_b32 s3, ttmp6, 15
	s_add_co_i32 s2, s2, 1
	s_getreg_b32 s18, hwreg(HW_REG_IB_STS2, 6, 4)
	s_mul_i32 s2, ttmp9, s2
	s_delay_alu instid0(SALU_CYCLE_1)
	s_add_co_i32 s3, s3, s2
	s_cmp_eq_u32 s18, 0
	s_cselect_b32 s14, ttmp9, s3
	s_mov_b32 s3, 0
	s_ashr_i32 s15, s14, 31
	s_wait_kmcnt 0x0
	v_cmp_gt_i32_e64 s2, s13, v0
	s_and_saveexec_b32 s19, s2
	s_cbranch_execz .LBB9_17
; %bb.1:
	s_clause 0x1
	s_load_b128 s[24:27], s[0:1], 0x8
	s_load_b32 s20, s[0:1], 0x18
	s_mul_u64 s[4:5], s[4:5], s[14:15]
	s_sub_co_i32 s21, 1, s13
	s_lshl_b64 s[4:5], s[4:5], 2
	v_xad_u32 v3, v0, -1, s13
                                        ; implicit-def: $vgpr1
                                        ; implicit-def: $vgpr2
	s_wait_kmcnt 0x0
	s_lshl_b64 s[22:23], s[26:27], 2
	s_add_nc_u64 s[4:5], s[24:25], s[4:5]
	s_mul_i32 s21, s20, s21
	s_cmp_lt_i32 s20, 1
	s_add_nc_u64 s[4:5], s[4:5], s[22:23]
	s_cselect_b32 s21, s21, 0
	s_mov_b32 s24, -1
	s_mov_b32 s22, exec_lo
	v_cmpx_lt_u32_e32 0x63ff, v3
	s_xor_b32 s22, exec_lo, s22
	s_cbranch_execnz .LBB9_4
; %bb.2:
	s_and_not1_saveexec_b32 s22, s22
	s_cbranch_execnz .LBB9_14
.LBB9_3:
	s_or_b32 exec_lo, exec_lo, s22
	s_delay_alu instid0(SALU_CYCLE_1)
	s_and_b32 exec_lo, exec_lo, s3
	s_cbranch_execnz .LBB9_15
	s_branch .LBB9_17
.LBB9_4:
	s_lshl_b32 s23, s20, 10
	v_mad_u32 v1, v0, s20, s21
	s_sub_co_i32 s3, 0, s23
	s_cmp_lt_i32 s23, 0
	v_lshrrev_b32_e32 v4, 10, v3
	s_cselect_b32 vcc_lo, -1, 0
	s_delay_alu instid0(SALU_CYCLE_1)
	s_and_b32 s25, vcc_lo, exec_lo
	s_cselect_b32 s25, s3, s23
	s_delay_alu instid0(VALU_DEP_1) | instid1(SALU_CYCLE_1)
	v_mul_lo_u32 v2, s25, v4
	s_delay_alu instid0(VALU_DEP_1) | instskip(NEXT) | instid1(VALU_DEP_1)
	v_sub_nc_u32_e32 v3, v1, v2
	v_cmp_gt_i32_e64 s3, v3, v1
	s_delay_alu instid0(VALU_DEP_1) | instskip(SKIP_1) | instid1(VALU_DEP_1)
	v_cndmask_b32_e64 v3, 0, 1, s3
	v_add_nc_u32_e32 v2, v1, v2
	v_cmp_lt_i32_e64 s3, v2, v1
	v_mul_hi_u32 v2, s25, v4
	s_delay_alu instid0(VALU_DEP_2) | instskip(NEXT) | instid1(VALU_DEP_1)
	v_cndmask_b32_e64 v1, 0, 1, s3
	v_cndmask_b32_e32 v1, v1, v3, vcc_lo
	s_delay_alu instid0(VALU_DEP_3) | instskip(NEXT) | instid1(VALU_DEP_2)
	v_cmp_eq_u32_e64 s3, 0, v2
	v_and_b32_e32 v1, 1, v1
	s_delay_alu instid0(VALU_DEP_1) | instskip(SKIP_2) | instid1(SALU_CYCLE_1)
	v_cmp_eq_u32_e32 vcc_lo, 1, v1
	v_mov_b32_e32 v1, v0
	s_xor_b32 s25, vcc_lo, -1
	s_and_b32 s25, s25, s3
	s_delay_alu instid0(SALU_CYCLE_1)
	s_and_saveexec_b32 s3, s25
	s_cbranch_execz .LBB9_13
; %bb.5:
	v_dual_add_nc_u32 v2, -1, v4 :: v_dual_mov_b32 v8, 0
	v_or_b32_e32 v1, 0x400, v0
	s_delay_alu instid0(VALU_DEP_2) | instskip(SKIP_1) | instid1(VALU_DEP_2)
	v_lshrrev_b32_e32 v3, 1, v2
	v_cmp_lt_u32_e32 vcc_lo, 5, v2
	v_add_nc_u32_e32 v5, 1, v3
	s_delay_alu instid0(VALU_DEP_4)
	v_mov_b64_e32 v[2:3], v[0:1]
	s_and_saveexec_b32 s24, vcc_lo
	s_cbranch_execz .LBB9_9
; %bb.6:
	v_mov_b64_e32 v[2:3], v[0:1]
	v_dual_lshlrev_b32 v7, 2, v0 :: v_dual_bitop2_b32 v6, -4, v5 bitop3:0x40
	s_mov_b32 s25, 0
	s_mov_b32 s26, 0
.LBB9_7:                                ; =>This Inner Loop Header: Depth=1
	s_delay_alu instid0(VALU_DEP_2)
	v_add_nc_u32_e32 v10, 0x1800, v3
	v_add_nc_u32_e32 v11, 0x1000, v3
	;; [unrolled: 1-line block ×3, first 2 shown]
	v_mad_u32 v8, v2, s20, s21
	s_add_co_i32 s26, s26, 8
	v_add_nc_u32_e32 v9, 0x800, v2
	v_add_nc_u32_e32 v13, 0x1000, v2
	v_mad_u32 v10, v10, s20, s21
	v_add_nc_u32_e32 v14, 0x1800, v2
	v_mad_u32 v11, v11, s20, s21
	v_mad_u32 v12, v12, s20, s21
	;; [unrolled: 1-line block ×6, first 2 shown]
	s_clause 0x7
	global_load_b32 v15, v8, s[4:5] scale_offset
	global_load_b32 v16, v10, s[4:5] scale_offset
	;; [unrolled: 1-line block ×8, first 2 shown]
	v_add_nc_u32_e32 v6, -4, v6
	v_add_nc_u32_e32 v3, 0x2000, v3
	v_add_nc_u32_e32 v2, 0x2000, v2
	s_wait_xcnt 0x7
	v_mov_b32_e32 v8, s26
	s_wait_loadcnt 0x3
	ds_store_2addr_stride64_b32 v7, v15, v19 offset1:16
	s_wait_loadcnt 0x2
	ds_store_2addr_stride64_b32 v7, v20, v18 offset0:32 offset1:48
	s_wait_loadcnt 0x1
	ds_store_2addr_stride64_b32 v7, v21, v17 offset0:64 offset1:80
	;; [unrolled: 2-line block ×3, first 2 shown]
	v_cmp_eq_u32_e32 vcc_lo, 0, v6
	v_add_nc_u32_e32 v7, 0x8000, v7
	s_or_b32 s25, vcc_lo, s25
	s_wait_xcnt 0x0
	s_and_not1_b32 exec_lo, exec_lo, s25
	s_cbranch_execnz .LBB9_7
; %bb.8:
	s_or_b32 exec_lo, exec_lo, s25
.LBB9_9:
	s_delay_alu instid0(SALU_CYCLE_1) | instskip(SKIP_3) | instid1(VALU_DEP_1)
	s_or_b32 exec_lo, exec_lo, s24
	v_and_b32_e32 v1, 3, v5
	s_mov_b32 s25, 0
	s_mov_b32 s24, exec_lo
	v_cmpx_ne_u32_e32 0, v1
	s_cbranch_execz .LBB9_12
; %bb.10:
	v_lshlrev_b32_e32 v5, 2, v0
	s_delay_alu instid0(VALU_DEP_1)
	v_lshl_or_b32 v5, v8, 12, v5
.LBB9_11:                               ; =>This Inner Loop Header: Depth=1
	v_mad_u32 v6, v2, s20, s21
	v_mad_u32 v7, v3, s20, s21
	v_add_nc_u32_e32 v1, -1, v1
	v_add_nc_u32_e32 v3, 0x800, v3
	v_add_nc_u32_e32 v2, 0x800, v2
	s_clause 0x1
	global_load_b32 v8, v6, s[4:5] scale_offset
	global_load_b32 v9, v7, s[4:5] scale_offset
	v_cmp_eq_u32_e32 vcc_lo, 0, v1
	s_or_b32 s25, vcc_lo, s25
	s_wait_loadcnt 0x0
	ds_store_2addr_stride64_b32 v5, v8, v9 offset1:16
	v_add_nc_u32_e32 v5, 0x2000, v5
	s_and_not1_b32 exec_lo, exec_lo, s25
	s_cbranch_execnz .LBB9_11
.LBB9_12:
	s_or_b32 exec_lo, exec_lo, s24
	v_add_nc_u32_e32 v1, 1, v4
	s_delay_alu instid0(VALU_DEP_1) | instskip(NEXT) | instid1(VALU_DEP_1)
	v_and_b32_e32 v2, 0x7ffffe, v1
	v_cmp_ne_u32_e32 vcc_lo, v1, v2
	v_lshl_or_b32 v1, v2, 10, v0
	s_or_not1_b32 s24, vcc_lo, exec_lo
.LBB9_13:
	s_or_b32 exec_lo, exec_lo, s3
	v_mov_b32_e32 v2, s23
	s_and_b32 s3, s24, exec_lo
	s_and_not1_saveexec_b32 s22, s22
	s_cbranch_execz .LBB9_3
.LBB9_14:
	s_lshl_b32 s23, s20, 10
	s_or_b32 s3, s3, exec_lo
	v_dual_mov_b32 v2, s23 :: v_dual_mov_b32 v1, v0
	s_or_b32 exec_lo, exec_lo, s22
	s_delay_alu instid0(SALU_CYCLE_1)
	s_and_b32 exec_lo, exec_lo, s3
	s_cbranch_execz .LBB9_17
.LBB9_15:
	s_delay_alu instid0(VALU_DEP_1)
	v_mad_u32 v3, v1, s20, s21
	v_lshlrev_b32_e32 v4, 2, v1
	s_mov_b32 s3, 0
.LBB9_16:                               ; =>This Inner Loop Header: Depth=1
	global_load_b32 v5, v3, s[4:5] scale_offset
	v_add_nc_u32_e32 v1, 0x400, v1
	s_wait_xcnt 0x0
	v_add_nc_u32_e32 v3, v3, v2
	s_delay_alu instid0(VALU_DEP_2)
	v_cmp_le_i32_e32 vcc_lo, s13, v1
	s_or_b32 s3, vcc_lo, s3
	s_wait_loadcnt 0x0
	ds_store_b32 v4, v5
	v_add_nc_u32_e32 v4, 0x1000, v4
	s_and_not1_b32 exec_lo, exec_lo, s3
	s_cbranch_execnz .LBB9_16
.LBB9_17:
	s_or_b32 exec_lo, exec_lo, s19
	s_bfe_u32 s3, ttmp6, 0x40010
	s_bfe_u32 s4, ttmp6, 0x40004
	s_add_co_i32 s3, s3, 1
	s_wait_dscnt 0x0
	s_mul_i32 s3, ttmp7, s3
	s_barrier_signal -1
	s_add_co_i32 s4, s4, s3
	s_cmp_eq_u32 s18, 0
	s_barrier_wait -1
	s_cselect_b32 s4, ttmp7, s4
	s_delay_alu instid0(SALU_CYCLE_1)
	s_cmp_ge_i32 s4, s12
	s_cbranch_scc1 .LBB9_37
; %bb.18:
	s_clause 0x1
	s_load_b64 s[18:19], s[0:1], 0x50
	s_load_b32 s5, s[0:1], 0x48
	s_mul_u64 s[8:9], s[8:9], s[14:15]
	v_dual_lshrrev_b32 v1, 3, v0 :: v_dual_bitop2_b32 v13, 31, v0 bitop3:0x40
	v_mbcnt_lo_u32_b32 v3, -1, 0
	s_lshl_b64 s[20:21], s[8:9], 2
	s_lshl_b64 s[16:17], s[16:17], 2
	s_wait_xcnt 0x0
	v_cmp_eq_u32_e64 s0, 0, v0
	v_dual_mov_b32 v5, 0x200c :: v_dual_lshlrev_b32 v2, 2, v0
	v_dual_mov_b32 v4, 0x2004 :: v_dual_mov_b32 v21, 0
	v_mov_b32_e32 v6, 0x2014
	v_mov_b32_e32 v7, 0x201c
	;; [unrolled: 1-line block ×7, first 2 shown]
	s_wait_kmcnt 0x0
	s_mul_u64 s[8:9], s[18:19], s[14:15]
	v_mul_lo_u32 v14, v0, s5
	s_lshl_b64 s[8:9], s[8:9], 2
	v_cmp_eq_u32_e64 s1, 0, v13
	v_lshl_or_b32 v13, v3, 2, 64
	v_mov_b32_e32 v15, 0x204c
	v_mov_b32_e32 v16, 0x2054
	;; [unrolled: 1-line block ×6, first 2 shown]
	s_add_nc_u64 s[8:9], s[10:11], s[8:9]
	s_cmp_gt_i32 s13, 1
	s_add_nc_u64 s[8:9], s[8:9], s[16:17]
	s_add_nc_u64 s[6:7], s[6:7], s[20:21]
	s_cselect_b32 s3, -1, 0
	s_lshl_b32 s14, s5, 10
	s_branch .LBB9_20
.LBB9_19:                               ;   in Loop: Header=BB9_20 Depth=1
	s_or_b32 exec_lo, exec_lo, s5
	s_add_co_i32 s4, s4, 64
	s_delay_alu instid0(SALU_CYCLE_1)
	s_cmp_ge_i32 s4, s12
	s_cbranch_scc1 .LBB9_37
.LBB9_20:                               ; =>This Loop Header: Depth=1
                                        ;     Child Loop BB9_22 Depth 2
                                        ;     Child Loop BB9_36 Depth 2
	s_ashr_i32 s5, s4, 31
	v_mov_b32_e32 v22, 0
	s_lshl_b64 s[10:11], s[4:5], 2
	s_delay_alu instid0(SALU_CYCLE_1)
	s_add_nc_u64 s[10:11], s[8:9], s[10:11]
	s_and_saveexec_b32 s5, s2
	s_cbranch_execz .LBB9_24
; %bb.21:                               ;   in Loop: Header=BB9_20 Depth=1
	v_dual_mov_b32 v22, 0 :: v_dual_mov_b32 v23, v14
	v_dual_mov_b32 v24, v2 :: v_dual_mov_b32 v25, v0
	s_mov_b32 s15, 0
.LBB9_22:                               ;   Parent Loop BB9_20 Depth=1
                                        ; =>  This Inner Loop Header: Depth=2
	global_load_b32 v26, v23, s[10:11] scale_offset
	ds_load_b32 v27, v24
	v_add_nc_u32_e32 v25, 0x400, v25
	v_add_nc_u32_e32 v24, 0x1000, v24
	s_wait_loadcnt_dscnt 0x0
	s_wait_xcnt 0x0
	v_dual_fmac_f32 v22, v27, v26 :: v_dual_add_nc_u32 v23, s14, v23
	v_cmp_le_i32_e32 vcc_lo, s13, v25
	s_or_b32 s15, vcc_lo, s15
	s_delay_alu instid0(SALU_CYCLE_1)
	s_and_not1_b32 exec_lo, exec_lo, s15
	s_cbranch_execnz .LBB9_22
; %bb.23:                               ;   in Loop: Header=BB9_20 Depth=1
	s_or_b32 exec_lo, exec_lo, s15
.LBB9_24:                               ;   in Loop: Header=BB9_20 Depth=1
	s_delay_alu instid0(SALU_CYCLE_1) | instskip(NEXT) | instid1(SALU_CYCLE_1)
	s_or_b32 exec_lo, exec_lo, s5
	s_and_b32 vcc_lo, exec_lo, s3
	s_cbranch_vccz .LBB9_31
; %bb.25:                               ;   in Loop: Header=BB9_20 Depth=1
	v_cmp_ne_u32_e32 vcc_lo, 31, v3
	v_add_co_ci_u32_e64 v23, null, 0, v3, vcc_lo
	v_cmp_gt_u32_e32 vcc_lo, 30, v3
	s_delay_alu instid0(VALU_DEP_2)
	v_lshlrev_b32_e32 v23, 2, v23
	v_cndmask_b32_e64 v24, 0, 2, vcc_lo
	v_cmp_gt_u32_e32 vcc_lo, 28, v3
	ds_bpermute_b32 v23, v23, v22
	v_add_lshl_u32 v24, v24, v3, 2
	v_cndmask_b32_e64 v25, 0, 4, vcc_lo
	v_cmp_gt_u32_e32 vcc_lo, 24, v3
	s_delay_alu instid0(VALU_DEP_2)
	v_add_lshl_u32 v25, v25, v3, 2
	s_wait_dscnt 0x0
	v_add_f32_e32 v23, v22, v23
	ds_bpermute_b32 v24, v24, v23
	s_wait_dscnt 0x0
	v_add_f32_e32 v23, v23, v24
	ds_bpermute_b32 v24, v25, v23
	v_cndmask_b32_e64 v25, 0, 8, vcc_lo
	s_wait_dscnt 0x0
	v_add_f32_e32 v23, v23, v24
	s_delay_alu instid0(VALU_DEP_2)
	v_add_lshl_u32 v24, v25, v3, 2
	ds_bpermute_b32 v24, v24, v23
	s_wait_dscnt 0x0
	v_add_f32_e32 v23, v23, v24
	ds_bpermute_b32 v24, v13, v23
	s_wait_dscnt 0x0
	v_add_f32_e32 v23, v23, v24
	s_and_saveexec_b32 s5, s1
; %bb.26:                               ;   in Loop: Header=BB9_20 Depth=1
	ds_store_b32 v1, v23 offset:8192
; %bb.27:                               ;   in Loop: Header=BB9_20 Depth=1
	s_or_b32 exec_lo, exec_lo, s5
	s_mov_b32 s15, 0
	s_mov_b32 s5, 0
	s_wait_dscnt 0x0
	s_barrier_signal -1
	s_barrier_wait -1
                                        ; implicit-def: $vgpr24
	s_and_saveexec_b32 s16, s0
	s_delay_alu instid0(SALU_CYCLE_1)
	s_xor_b32 s16, exec_lo, s16
	s_cbranch_execz .LBB9_29
; %bb.28:                               ;   in Loop: Header=BB9_20 Depth=1
	ds_load_2addr_b32 v[24:25], v4 offset1:1
	ds_load_2addr_b32 v[26:27], v5 offset1:1
	;; [unrolled: 1-line block ×4, first 2 shown]
	s_mov_b32 s5, exec_lo
	s_wait_dscnt 0x3
	v_add_f32_e32 v23, v23, v24
	s_delay_alu instid0(VALU_DEP_1) | instskip(SKIP_3) | instid1(VALU_DEP_1)
	v_add_f32_e32 v23, v23, v25
	ds_load_2addr_b32 v[24:25], v8 offset1:1
	s_wait_dscnt 0x3
	v_add_f32_e32 v23, v23, v26
	v_add_f32_e32 v23, v23, v27
	ds_load_2addr_b32 v[26:27], v9 offset1:1
	s_wait_dscnt 0x3
	v_add_f32_e32 v23, v23, v28
	s_delay_alu instid0(VALU_DEP_1) | instskip(SKIP_1) | instid1(VALU_DEP_1)
	v_add_f32_e32 v23, v23, v29
	s_wait_dscnt 0x2
	v_add_f32_e32 v23, v23, v30
	s_delay_alu instid0(VALU_DEP_1) | instskip(SKIP_4) | instid1(VALU_DEP_1)
	v_add_f32_e32 v23, v23, v31
	ds_load_2addr_b32 v[28:29], v10 offset1:1
	ds_load_2addr_b32 v[30:31], v11 offset1:1
	s_wait_dscnt 0x3
	v_add_f32_e32 v23, v23, v24
	v_add_f32_e32 v23, v23, v25
	ds_load_2addr_b32 v[24:25], v12 offset1:1
	s_wait_dscnt 0x3
	v_add_f32_e32 v23, v23, v26
	s_delay_alu instid0(VALU_DEP_1) | instskip(SKIP_3) | instid1(VALU_DEP_1)
	v_add_f32_e32 v23, v23, v27
	ds_load_2addr_b32 v[26:27], v15 offset1:1
	s_wait_dscnt 0x3
	v_add_f32_e32 v23, v23, v28
	v_add_f32_e32 v23, v23, v29
	s_wait_dscnt 0x2
	s_delay_alu instid0(VALU_DEP_1) | instskip(NEXT) | instid1(VALU_DEP_1)
	v_add_f32_e32 v23, v23, v30
	v_add_f32_e32 v23, v23, v31
	ds_load_2addr_b32 v[28:29], v16 offset1:1
	ds_load_2addr_b32 v[30:31], v17 offset1:1
	s_wait_dscnt 0x3
	v_add_f32_e32 v23, v23, v24
	s_delay_alu instid0(VALU_DEP_1) | instskip(SKIP_3) | instid1(VALU_DEP_1)
	v_add_f32_e32 v23, v23, v25
	ds_load_2addr_b32 v[24:25], v18 offset1:1
	s_wait_dscnt 0x3
	v_add_f32_e32 v23, v23, v26
	v_add_f32_e32 v23, v23, v27
	ds_load_2addr_b32 v[26:27], v19 offset1:1
	s_wait_dscnt 0x3
	v_add_f32_e32 v23, v23, v28
	s_delay_alu instid0(VALU_DEP_1) | instskip(SKIP_1) | instid1(VALU_DEP_1)
	v_add_f32_e32 v23, v23, v29
	s_wait_dscnt 0x2
	v_add_f32_e32 v23, v23, v30
	ds_load_2addr_b32 v[28:29], v20 offset1:1
	ds_load_b32 v30, v21 offset:8316
	v_add_f32_e32 v23, v23, v31
	s_wait_dscnt 0x3
	s_delay_alu instid0(VALU_DEP_1) | instskip(NEXT) | instid1(VALU_DEP_1)
	v_add_f32_e32 v23, v23, v24
	v_add_f32_e32 v23, v23, v25
	s_wait_dscnt 0x2
	s_delay_alu instid0(VALU_DEP_1) | instskip(NEXT) | instid1(VALU_DEP_1)
	v_add_f32_e32 v23, v23, v26
	;; [unrolled: 4-line block ×3, first 2 shown]
	v_add_f32_e32 v23, v23, v29
	s_wait_dscnt 0x0
	s_delay_alu instid0(VALU_DEP_1)
	v_add_f32_e32 v24, v23, v30
.LBB9_29:                               ;   in Loop: Header=BB9_20 Depth=1
	s_or_b32 exec_lo, exec_lo, s16
	s_delay_alu instid0(SALU_CYCLE_1)
	s_and_b32 vcc_lo, exec_lo, s15
	s_cbranch_vccnz .LBB9_32
.LBB9_30:                               ;   in Loop: Header=BB9_20 Depth=1
	s_delay_alu instid0(VALU_DEP_1)
	v_mov_b32_e32 v22, v24
	s_and_saveexec_b32 s15, s5
	s_cbranch_execnz .LBB9_33
	s_branch .LBB9_34
.LBB9_31:                               ;   in Loop: Header=BB9_20 Depth=1
	s_mov_b32 s5, 0
                                        ; implicit-def: $vgpr24
	s_cbranch_execz .LBB9_30
.LBB9_32:                               ;   in Loop: Header=BB9_20 Depth=1
	s_and_not1_b32 s5, s5, exec_lo
	s_and_b32 s15, s0, exec_lo
	s_delay_alu instid0(SALU_CYCLE_1) | instskip(NEXT) | instid1(SALU_CYCLE_1)
	s_or_b32 s5, s5, s15
	s_and_saveexec_b32 s15, s5
.LBB9_33:                               ;   in Loop: Header=BB9_20 Depth=1
	ds_store_b32 v21, v22 offset:8192
.LBB9_34:                               ;   in Loop: Header=BB9_20 Depth=1
	s_or_b32 exec_lo, exec_lo, s15
	s_wait_dscnt 0x0
	s_barrier_signal -1
	s_barrier_wait -1
	s_and_saveexec_b32 s5, s2
	s_cbranch_execz .LBB9_19
; %bb.35:                               ;   in Loop: Header=BB9_20 Depth=1
	global_load_b32 v22, v21, s[6:7]
	ds_load_b32 v24, v21 offset:8192
	s_mov_b32 s15, 0
	v_mov_b32_e32 v23, v14
	s_wait_loadcnt 0x0
	v_xor_b32_e32 v25, 0x80000000, v22
	s_wait_dscnt 0x0
	s_delay_alu instid0(VALU_DEP_1)
	v_dual_mov_b32 v22, v2 :: v_dual_mul_f32 v24, v24, v25
	v_mov_b32_e32 v25, v0
.LBB9_36:                               ;   Parent Loop BB9_20 Depth=1
                                        ; =>  This Inner Loop Header: Depth=2
	global_load_b32 v26, v23, s[10:11] scale_offset
	ds_load_b32 v27, v22
	v_add_nc_u32_e32 v25, 0x400, v25
	v_add_nc_u32_e32 v22, 0x1000, v22
	s_wait_loadcnt_dscnt 0x0
	v_fmac_f32_e32 v26, v24, v27
	s_delay_alu instid0(VALU_DEP_3) | instskip(SKIP_4) | instid1(SALU_CYCLE_1)
	v_cmp_le_i32_e32 vcc_lo, s13, v25
	global_store_b32 v23, v26, s[10:11] scale_offset
	s_wait_xcnt 0x0
	v_add_nc_u32_e32 v23, s14, v23
	s_or_b32 s15, vcc_lo, s15
	s_and_not1_b32 exec_lo, exec_lo, s15
	s_cbranch_execnz .LBB9_36
	s_branch .LBB9_19
.LBB9_37:
	s_endpgm
	.section	.rodata,"a",@progbits
	.p2align	6, 0x0
	.amdhsa_kernel _ZN9rocsolver6v33100L23larf_right_kernel_smallILi1024EfiPfEEvT1_S3_T2_lS3_lPKT0_lS4_lS3_l
		.amdhsa_group_segment_fixed_size 8320
		.amdhsa_private_segment_fixed_size 0
		.amdhsa_kernarg_size 88
		.amdhsa_user_sgpr_count 2
		.amdhsa_user_sgpr_dispatch_ptr 0
		.amdhsa_user_sgpr_queue_ptr 0
		.amdhsa_user_sgpr_kernarg_segment_ptr 1
		.amdhsa_user_sgpr_dispatch_id 0
		.amdhsa_user_sgpr_kernarg_preload_length 0
		.amdhsa_user_sgpr_kernarg_preload_offset 0
		.amdhsa_user_sgpr_private_segment_size 0
		.amdhsa_wavefront_size32 1
		.amdhsa_uses_dynamic_stack 0
		.amdhsa_enable_private_segment 0
		.amdhsa_system_sgpr_workgroup_id_x 1
		.amdhsa_system_sgpr_workgroup_id_y 1
		.amdhsa_system_sgpr_workgroup_id_z 0
		.amdhsa_system_sgpr_workgroup_info 0
		.amdhsa_system_vgpr_workitem_id 0
		.amdhsa_next_free_vgpr 32
		.amdhsa_next_free_sgpr 28
		.amdhsa_named_barrier_count 0
		.amdhsa_reserve_vcc 1
		.amdhsa_float_round_mode_32 0
		.amdhsa_float_round_mode_16_64 0
		.amdhsa_float_denorm_mode_32 3
		.amdhsa_float_denorm_mode_16_64 3
		.amdhsa_fp16_overflow 0
		.amdhsa_memory_ordered 1
		.amdhsa_forward_progress 1
		.amdhsa_inst_pref_size 19
		.amdhsa_round_robin_scheduling 0
		.amdhsa_exception_fp_ieee_invalid_op 0
		.amdhsa_exception_fp_denorm_src 0
		.amdhsa_exception_fp_ieee_div_zero 0
		.amdhsa_exception_fp_ieee_overflow 0
		.amdhsa_exception_fp_ieee_underflow 0
		.amdhsa_exception_fp_ieee_inexact 0
		.amdhsa_exception_int_div_zero 0
	.end_amdhsa_kernel
	.section	.text._ZN9rocsolver6v33100L23larf_right_kernel_smallILi1024EfiPfEEvT1_S3_T2_lS3_lPKT0_lS4_lS3_l,"axG",@progbits,_ZN9rocsolver6v33100L23larf_right_kernel_smallILi1024EfiPfEEvT1_S3_T2_lS3_lPKT0_lS4_lS3_l,comdat
.Lfunc_end9:
	.size	_ZN9rocsolver6v33100L23larf_right_kernel_smallILi1024EfiPfEEvT1_S3_T2_lS3_lPKT0_lS4_lS3_l, .Lfunc_end9-_ZN9rocsolver6v33100L23larf_right_kernel_smallILi1024EfiPfEEvT1_S3_T2_lS3_lPKT0_lS4_lS3_l
                                        ; -- End function
	.set _ZN9rocsolver6v33100L23larf_right_kernel_smallILi1024EfiPfEEvT1_S3_T2_lS3_lPKT0_lS4_lS3_l.num_vgpr, 32
	.set _ZN9rocsolver6v33100L23larf_right_kernel_smallILi1024EfiPfEEvT1_S3_T2_lS3_lPKT0_lS4_lS3_l.num_agpr, 0
	.set _ZN9rocsolver6v33100L23larf_right_kernel_smallILi1024EfiPfEEvT1_S3_T2_lS3_lPKT0_lS4_lS3_l.numbered_sgpr, 28
	.set _ZN9rocsolver6v33100L23larf_right_kernel_smallILi1024EfiPfEEvT1_S3_T2_lS3_lPKT0_lS4_lS3_l.num_named_barrier, 0
	.set _ZN9rocsolver6v33100L23larf_right_kernel_smallILi1024EfiPfEEvT1_S3_T2_lS3_lPKT0_lS4_lS3_l.private_seg_size, 0
	.set _ZN9rocsolver6v33100L23larf_right_kernel_smallILi1024EfiPfEEvT1_S3_T2_lS3_lPKT0_lS4_lS3_l.uses_vcc, 1
	.set _ZN9rocsolver6v33100L23larf_right_kernel_smallILi1024EfiPfEEvT1_S3_T2_lS3_lPKT0_lS4_lS3_l.uses_flat_scratch, 0
	.set _ZN9rocsolver6v33100L23larf_right_kernel_smallILi1024EfiPfEEvT1_S3_T2_lS3_lPKT0_lS4_lS3_l.has_dyn_sized_stack, 0
	.set _ZN9rocsolver6v33100L23larf_right_kernel_smallILi1024EfiPfEEvT1_S3_T2_lS3_lPKT0_lS4_lS3_l.has_recursion, 0
	.set _ZN9rocsolver6v33100L23larf_right_kernel_smallILi1024EfiPfEEvT1_S3_T2_lS3_lPKT0_lS4_lS3_l.has_indirect_call, 0
	.section	.AMDGPU.csdata,"",@progbits
; Kernel info:
; codeLenInByte = 2420
; TotalNumSgprs: 30
; NumVgprs: 32
; ScratchSize: 0
; MemoryBound: 0
; FloatMode: 240
; IeeeMode: 1
; LDSByteSize: 8320 bytes/workgroup (compile time only)
; SGPRBlocks: 0
; VGPRBlocks: 1
; NumSGPRsForWavesPerEU: 30
; NumVGPRsForWavesPerEU: 32
; NamedBarCnt: 0
; Occupancy: 16
; WaveLimiterHint : 0
; COMPUTE_PGM_RSRC2:SCRATCH_EN: 0
; COMPUTE_PGM_RSRC2:USER_SGPR: 2
; COMPUTE_PGM_RSRC2:TRAP_HANDLER: 0
; COMPUTE_PGM_RSRC2:TGID_X_EN: 1
; COMPUTE_PGM_RSRC2:TGID_Y_EN: 1
; COMPUTE_PGM_RSRC2:TGID_Z_EN: 0
; COMPUTE_PGM_RSRC2:TIDIG_COMP_CNT: 0
	.section	.text._ZN9rocsolver6v33100L22larf_left_kernel_smallILi64EfiPKPfEEvT1_S5_T2_lS5_lPKT0_lS6_lS5_l,"axG",@progbits,_ZN9rocsolver6v33100L22larf_left_kernel_smallILi64EfiPKPfEEvT1_S5_T2_lS5_lPKT0_lS6_lS5_l,comdat
	.globl	_ZN9rocsolver6v33100L22larf_left_kernel_smallILi64EfiPKPfEEvT1_S5_T2_lS5_lPKT0_lS6_lS5_l ; -- Begin function _ZN9rocsolver6v33100L22larf_left_kernel_smallILi64EfiPKPfEEvT1_S5_T2_lS5_lPKT0_lS6_lS5_l
	.p2align	8
	.type	_ZN9rocsolver6v33100L22larf_left_kernel_smallILi64EfiPKPfEEvT1_S5_T2_lS5_lPKT0_lS6_lS5_l,@function
_ZN9rocsolver6v33100L22larf_left_kernel_smallILi64EfiPKPfEEvT1_S5_T2_lS5_lPKT0_lS6_lS5_l: ; @_ZN9rocsolver6v33100L22larf_left_kernel_smallILi64EfiPKPfEEvT1_S5_T2_lS5_lPKT0_lS6_lS5_l
; %bb.0:
	s_load_b256 s[4:11], s[0:1], 0x28
	s_bfe_u32 s2, ttmp6, 0x4000c
	s_and_b32 s3, ttmp6, 15
	s_add_co_i32 s2, s2, 1
	s_getreg_b32 s18, hwreg(HW_REG_IB_STS2, 6, 4)
	s_mul_i32 s2, ttmp9, s2
	s_load_b64 s[12:13], s[0:1], 0x0
	s_add_co_i32 s3, s3, s2
	s_cmp_eq_u32 s18, 0
	s_cselect_b32 s14, ttmp9, s3
	s_delay_alu instid0(SALU_CYCLE_1) | instskip(NEXT) | instid1(SALU_CYCLE_1)
	s_ashr_i32 s15, s14, 31
	s_lshl_b64 s[16:17], s[14:15], 3
	s_wait_kmcnt 0x0
	s_add_nc_u64 s[2:3], s[8:9], s[16:17]
	s_load_b64 s[8:9], s[2:3], 0x0
	s_wait_xcnt 0x0
	s_mov_b32 s3, 0
	v_cmp_gt_i32_e64 s2, s12, v0
	v_xad_u32 v4, v0, -1, s12
	s_and_saveexec_b32 s19, s2
	s_cbranch_execz .LBB10_17
; %bb.1:
	s_clause 0x1
	s_load_b128 s[24:27], s[0:1], 0x8
	s_load_b32 s20, s[0:1], 0x18
	s_sub_co_i32 s21, 1, s12
                                        ; implicit-def: $vgpr1
                                        ; implicit-def: $vgpr2
	s_wait_kmcnt 0x0
	s_add_nc_u64 s[16:17], s[24:25], s[16:17]
	s_lshl_b64 s[22:23], s[26:27], 2
	s_load_b64 s[16:17], s[16:17], 0x0
	s_mul_i32 s21, s20, s21
	s_cmp_lt_i32 s20, 1
	s_mov_b32 s24, -1
	s_cselect_b32 s21, s21, 0
	s_wait_kmcnt 0x0
	s_add_nc_u64 s[16:17], s[16:17], s[22:23]
	s_mov_b32 s22, exec_lo
	v_cmpx_lt_u32_e32 0x63f, v4
	s_xor_b32 s22, exec_lo, s22
	s_cbranch_execnz .LBB10_4
; %bb.2:
	s_and_not1_saveexec_b32 s22, s22
	s_cbranch_execnz .LBB10_14
.LBB10_3:
	s_or_b32 exec_lo, exec_lo, s22
	s_delay_alu instid0(SALU_CYCLE_1)
	s_and_b32 exec_lo, exec_lo, s3
	s_cbranch_execnz .LBB10_15
	s_branch .LBB10_17
.LBB10_4:
	s_lshl_b32 s23, s20, 6
	v_mad_u32 v1, v0, s20, s21
	s_sub_co_i32 s3, 0, s23
	s_cmp_lt_i32 s23, 0
	v_lshrrev_b32_e32 v5, 6, v4
	s_cselect_b32 vcc_lo, -1, 0
	s_delay_alu instid0(SALU_CYCLE_1)
	s_and_b32 s25, vcc_lo, exec_lo
	s_cselect_b32 s25, s3, s23
	s_delay_alu instid0(VALU_DEP_1) | instid1(SALU_CYCLE_1)
	v_mul_lo_u32 v2, s25, v5
	s_delay_alu instid0(VALU_DEP_1) | instskip(NEXT) | instid1(VALU_DEP_1)
	v_sub_nc_u32_e32 v3, v1, v2
	v_cmp_gt_i32_e64 s3, v3, v1
	s_delay_alu instid0(VALU_DEP_1) | instskip(SKIP_1) | instid1(VALU_DEP_1)
	v_cndmask_b32_e64 v3, 0, 1, s3
	v_add_nc_u32_e32 v2, v1, v2
	v_cmp_lt_i32_e64 s3, v2, v1
	v_mul_hi_u32 v2, s25, v5
	s_delay_alu instid0(VALU_DEP_2) | instskip(NEXT) | instid1(VALU_DEP_1)
	v_cndmask_b32_e64 v1, 0, 1, s3
	v_cndmask_b32_e32 v1, v1, v3, vcc_lo
	s_delay_alu instid0(VALU_DEP_3) | instskip(NEXT) | instid1(VALU_DEP_2)
	v_cmp_eq_u32_e64 s3, 0, v2
	v_and_b32_e32 v1, 1, v1
	s_delay_alu instid0(VALU_DEP_1) | instskip(SKIP_2) | instid1(SALU_CYCLE_1)
	v_cmp_eq_u32_e32 vcc_lo, 1, v1
	v_mov_b32_e32 v1, v0
	s_xor_b32 s25, vcc_lo, -1
	s_and_b32 s25, s25, s3
	s_delay_alu instid0(SALU_CYCLE_1)
	s_and_saveexec_b32 s3, s25
	s_cbranch_execz .LBB10_13
; %bb.5:
	v_dual_add_nc_u32 v2, -1, v5 :: v_dual_bitop2_b32 v1, 64, v0 bitop3:0x54
	s_delay_alu instid0(VALU_DEP_1) | instskip(SKIP_1) | instid1(VALU_DEP_2)
	v_dual_mov_b32 v9, 0 :: v_dual_lshrrev_b32 v3, 1, v2
	v_cmp_lt_u32_e32 vcc_lo, 5, v2
	v_add_nc_u32_e32 v6, 1, v3
	s_delay_alu instid0(VALU_DEP_4)
	v_mov_b64_e32 v[2:3], v[0:1]
	s_and_saveexec_b32 s24, vcc_lo
	s_cbranch_execz .LBB10_9
; %bb.6:
	v_mov_b64_e32 v[2:3], v[0:1]
	v_dual_lshlrev_b32 v8, 2, v0 :: v_dual_bitop2_b32 v7, -4, v6 bitop3:0x40
	s_mov_b32 s25, 0
	s_mov_b32 s26, 0
.LBB10_7:                               ; =>This Inner Loop Header: Depth=1
	s_delay_alu instid0(VALU_DEP_2) | instskip(NEXT) | instid1(VALU_DEP_3)
	v_mad_u32 v1, v2, s20, s21
	v_mad_u32 v9, v3, s20, s21
	s_add_co_i32 s26, s26, 8
	v_add_nc_u32_e32 v7, -4, v7
	s_clause 0x1
	flat_load_b32 v10, v1, s[16:17] scale_offset
	flat_load_b32 v11, v9, s[16:17] scale_offset
	s_wait_xcnt 0x1
	v_add_nc_u32_e32 v1, 0x80, v2
	s_wait_xcnt 0x0
	v_add_nc_u32_e32 v9, 0x80, v3
	s_delay_alu instid0(VALU_DEP_2) | instskip(NEXT) | instid1(VALU_DEP_2)
	v_mad_u32 v1, v1, s20, s21
	v_mad_u32 v9, v9, s20, s21
	s_wait_loadcnt_dscnt 0x0
	ds_store_2addr_stride64_b32 v8, v10, v11 offset1:1
	s_clause 0x1
	flat_load_b32 v10, v1, s[16:17] scale_offset
	flat_load_b32 v11, v9, s[16:17] scale_offset
	s_wait_xcnt 0x1
	v_add_nc_u32_e32 v1, 0x100, v2
	s_wait_xcnt 0x0
	v_add_nc_u32_e32 v9, 0x100, v3
	s_delay_alu instid0(VALU_DEP_2) | instskip(NEXT) | instid1(VALU_DEP_2)
	v_mad_u32 v1, v1, s20, s21
	v_mad_u32 v9, v9, s20, s21
	s_wait_loadcnt_dscnt 0x0
	ds_store_2addr_stride64_b32 v8, v10, v11 offset0:2 offset1:3
	s_clause 0x1
	flat_load_b32 v10, v1, s[16:17] scale_offset
	flat_load_b32 v11, v9, s[16:17] scale_offset
	s_wait_xcnt 0x1
	v_add_nc_u32_e32 v1, 0x180, v2
	s_wait_xcnt 0x0
	v_add_nc_u32_e32 v9, 0x180, v3
	v_add_nc_u32_e32 v3, 0x200, v3
	;; [unrolled: 1-line block ×3, first 2 shown]
	v_mad_u32 v1, v1, s20, s21
	s_delay_alu instid0(VALU_DEP_4)
	v_mad_u32 v9, v9, s20, s21
	s_wait_loadcnt_dscnt 0x0
	ds_store_2addr_stride64_b32 v8, v10, v11 offset0:4 offset1:5
	s_clause 0x1
	flat_load_b32 v10, v1, s[16:17] scale_offset
	flat_load_b32 v11, v9, s[16:17] scale_offset
	s_wait_xcnt 0x0
	v_mov_b32_e32 v9, s26
	v_cmp_eq_u32_e32 vcc_lo, 0, v7
	s_or_b32 s25, vcc_lo, s25
	s_wait_loadcnt_dscnt 0x0
	ds_store_2addr_stride64_b32 v8, v10, v11 offset0:6 offset1:7
	v_add_nc_u32_e32 v8, 0x800, v8
	s_and_not1_b32 exec_lo, exec_lo, s25
	s_cbranch_execnz .LBB10_7
; %bb.8:
	s_or_b32 exec_lo, exec_lo, s25
.LBB10_9:
	s_delay_alu instid0(SALU_CYCLE_1) | instskip(SKIP_3) | instid1(VALU_DEP_1)
	s_or_b32 exec_lo, exec_lo, s24
	v_and_b32_e32 v1, 3, v6
	s_mov_b32 s25, 0
	s_mov_b32 s24, exec_lo
	v_cmpx_ne_u32_e32 0, v1
	s_cbranch_execz .LBB10_12
; %bb.10:
	v_lshlrev_b32_e32 v6, 2, v0
	s_delay_alu instid0(VALU_DEP_1)
	v_lshl_or_b32 v6, v9, 8, v6
.LBB10_11:                              ; =>This Inner Loop Header: Depth=1
	v_mad_u32 v7, v2, s20, s21
	v_mad_u32 v8, v3, s20, s21
	v_add_nc_u32_e32 v1, -1, v1
	v_add_nc_u32_e32 v3, 0x80, v3
	v_add_nc_u32_e32 v2, 0x80, v2
	s_clause 0x1
	flat_load_b32 v9, v7, s[16:17] scale_offset
	flat_load_b32 v10, v8, s[16:17] scale_offset
	v_cmp_eq_u32_e32 vcc_lo, 0, v1
	s_or_b32 s25, vcc_lo, s25
	s_wait_loadcnt_dscnt 0x0
	ds_store_2addr_stride64_b32 v6, v9, v10 offset1:1
	v_add_nc_u32_e32 v6, 0x200, v6
	s_and_not1_b32 exec_lo, exec_lo, s25
	s_cbranch_execnz .LBB10_11
.LBB10_12:
	s_or_b32 exec_lo, exec_lo, s24
	v_add_nc_u32_e32 v1, 1, v5
	s_delay_alu instid0(VALU_DEP_1) | instskip(NEXT) | instid1(VALU_DEP_1)
	v_and_b32_e32 v2, 0x7fffffe, v1
	v_cmp_ne_u32_e32 vcc_lo, v1, v2
	v_lshl_or_b32 v1, v2, 6, v0
	s_or_not1_b32 s24, vcc_lo, exec_lo
.LBB10_13:
	s_or_b32 exec_lo, exec_lo, s3
	v_mov_b32_e32 v2, s23
	s_and_b32 s3, s24, exec_lo
	s_and_not1_saveexec_b32 s22, s22
	s_cbranch_execz .LBB10_3
.LBB10_14:
	s_lshl_b32 s23, s20, 6
	s_or_b32 s3, s3, exec_lo
	v_dual_mov_b32 v2, s23 :: v_dual_mov_b32 v1, v0
	s_or_b32 exec_lo, exec_lo, s22
	s_delay_alu instid0(SALU_CYCLE_1)
	s_and_b32 exec_lo, exec_lo, s3
	s_cbranch_execz .LBB10_17
.LBB10_15:
	s_delay_alu instid0(VALU_DEP_1)
	v_mad_u32 v3, v1, s20, s21
	v_lshlrev_b32_e32 v5, 2, v1
	s_mov_b32 s3, 0
.LBB10_16:                              ; =>This Inner Loop Header: Depth=1
	flat_load_b32 v6, v3, s[16:17] scale_offset
	s_wait_xcnt 0x0
	v_dual_add_nc_u32 v1, 64, v1 :: v_dual_add_nc_u32 v3, v3, v2
	s_delay_alu instid0(VALU_DEP_1)
	v_cmp_le_i32_e32 vcc_lo, s12, v1
	s_or_b32 s3, vcc_lo, s3
	s_wait_loadcnt_dscnt 0x0
	ds_store_b32 v5, v6
	v_add_nc_u32_e32 v5, 0x100, v5
	s_and_not1_b32 exec_lo, exec_lo, s3
	s_cbranch_execnz .LBB10_16
.LBB10_17:
	s_or_b32 exec_lo, exec_lo, s19
	s_bfe_u32 s3, ttmp6, 0x40010
	s_bfe_u32 s16, ttmp6, 0x40004
	s_add_co_i32 s3, s3, 1
	s_wait_dscnt 0x0
	s_mul_i32 s3, ttmp7, s3
	s_barrier_signal -1
	s_add_co_i32 s16, s16, s3
	s_cmp_eq_u32 s18, 0
	s_barrier_wait -1
	s_cselect_b32 s22, ttmp7, s16
	s_delay_alu instid0(SALU_CYCLE_1)
	s_cmp_ge_i32 s22, s13
	s_cbranch_scc1 .LBB10_55
; %bb.18:
	v_lshrrev_b32_e32 v1, 6, v4
	v_and_b32_e32 v2, 31, v0
	s_load_b32 s23, s[0:1], 0x48
	s_wait_xcnt 0x0
	s_lshl_b64 s[0:1], s[10:11], 2
	s_mul_u64 s[6:7], s[6:7], s[14:15]
	v_dual_add_nc_u32 v6, 1, v1 :: v_dual_lshrrev_b32 v14, 3, v0
	s_wait_kmcnt 0x0
	s_add_nc_u64 s[10:11], s[8:9], s[0:1]
	s_lshl_b64 s[0:1], s[6:7], 2
	v_mbcnt_lo_u32_b32 v18, -1, 0
	s_add_nc_u64 s[14:15], s[4:5], s[0:1]
	v_cmp_eq_u32_e64 s0, 0, v2
	v_dual_add_nc_u32 v5, -1, v1 :: v_dual_bitop2_b32 v2, 7, v6 bitop3:0x40
	v_and_b32_e32 v7, 0x7fffffe, v6
	v_mov_b32_e32 v3, 0
	v_cmp_lt_u32_e64 s4, 0x1bf, v4
	v_cmp_lt_u32_e64 s5, 63, v4
	v_lshrrev_b32_e32 v1, 1, v5
	v_cmp_lt_u32_e64 s6, 5, v5
	v_lshlrev_b32_e32 v4, 2, v0
	v_lshl_or_b32 v15, v7, 6, v0
	v_cmp_ne_u32_e64 s8, v6, v7
	v_dual_add_nc_u32 v8, 1, v1 :: v_dual_bitop2_b32 v1, 64, v0 bitop3:0x54
	v_mov_b32_e32 v5, v3
	v_cmp_eq_u32_e64 s1, 0, v0
	v_cmp_ne_u32_e64 s3, 0, v2
	s_delay_alu instid0(VALU_DEP_4) | instskip(SKIP_3) | instid1(VALU_DEP_4)
	v_and_b32_e32 v16, 3, v8
	v_dual_lshlrev_b32 v20, 2, v15 :: v_dual_bitop2_b32 v17, -4, v8 bitop3:0x40
	v_add_nc_u64_e32 v[6:7], s[10:11], v[4:5]
	v_lshlrev_b32_e32 v5, 2, v2
	v_cmp_ne_u32_e64 s7, 0, v16
	v_lshl_or_b32 v19, v18, 2, 64
	s_cmp_gt_i32 s12, 1
	s_mul_i32 s16, s22, s23
	s_cselect_b32 s9, -1, 0
	s_lshl_b32 s24, s23, 6
	s_add_nc_u64 s[18:19], s[10:11], 0x700
	s_branch .LBB10_20
.LBB10_19:                              ;   in Loop: Header=BB10_20 Depth=1
	s_or_b32 exec_lo, exec_lo, s17
	s_add_co_i32 s22, s22, 64
	s_add_co_i32 s16, s16, s24
	s_cmp_ge_i32 s22, s13
	s_cbranch_scc1 .LBB10_55
.LBB10_20:                              ; =>This Loop Header: Depth=1
                                        ;     Child Loop BB10_23 Depth 2
                                        ;     Child Loop BB10_27 Depth 2
	;; [unrolled: 1-line block ×5, first 2 shown]
	v_mov_b32_e32 v10, 0
	s_ashr_i32 s17, s16, 31
	s_delay_alu instid0(SALU_CYCLE_1)
	s_lshl_b64 s[20:21], s[16:17], 2
	s_and_saveexec_b32 s17, s2
	s_cbranch_execz .LBB10_30
; %bb.21:                               ;   in Loop: Header=BB10_20 Depth=1
	v_dual_mov_b32 v10, 0 :: v_dual_mov_b32 v2, v0
	s_and_saveexec_b32 s25, s3
	s_cbranch_execz .LBB10_25
; %bb.22:                               ;   in Loop: Header=BB10_20 Depth=1
	v_add_nc_u64_e32 v[8:9], s[20:21], v[6:7]
	v_dual_mov_b32 v10, 0 :: v_dual_mov_b32 v11, v5
	v_dual_mov_b32 v12, v4 :: v_dual_mov_b32 v2, v0
	s_mov_b32 s26, 0
.LBB10_23:                              ;   Parent Loop BB10_20 Depth=1
                                        ; =>  This Inner Loop Header: Depth=2
	flat_load_b32 v13, v[8:9]
	ds_load_b32 v21, v12
	v_dual_add_nc_u32 v11, -4, v11 :: v_dual_add_nc_u32 v2, 64, v2
	s_wait_xcnt 0x0
	v_add_nc_u64_e32 v[8:9], 0x100, v[8:9]
	v_add_nc_u32_e32 v12, 0x100, v12
	s_delay_alu instid0(VALU_DEP_3)
	v_cmp_eq_u32_e32 vcc_lo, 0, v11
	s_or_b32 s26, vcc_lo, s26
	s_wait_loadcnt_dscnt 0x0
	v_fmac_f32_e32 v10, v21, v13
	s_and_not1_b32 exec_lo, exec_lo, s26
	s_cbranch_execnz .LBB10_23
; %bb.24:                               ;   in Loop: Header=BB10_20 Depth=1
	s_or_b32 exec_lo, exec_lo, s26
.LBB10_25:                              ;   in Loop: Header=BB10_20 Depth=1
	s_delay_alu instid0(SALU_CYCLE_1)
	s_or_b32 exec_lo, exec_lo, s25
	s_and_saveexec_b32 s25, s4
	s_cbranch_execz .LBB10_29
; %bb.26:                               ;   in Loop: Header=BB10_20 Depth=1
	s_add_nc_u64 s[26:27], s[18:19], s[20:21]
	v_lshlrev_b32_e32 v11, 2, v2
	v_lshl_add_u64 v[8:9], v[2:3], 2, s[26:27]
	s_mov_b32 s26, 0
.LBB10_27:                              ;   Parent Loop BB10_20 Depth=1
                                        ; =>  This Inner Loop Header: Depth=2
	s_clause 0x7
	flat_load_b32 v21, v[8:9] offset:-1792
	flat_load_b32 v28, v[8:9] offset:-1536
	;; [unrolled: 1-line block ×7, first 2 shown]
	flat_load_b32 v34, v[8:9]
	ds_load_2addr_stride64_b32 v[12:13], v11 offset1:1
	ds_load_2addr_stride64_b32 v[22:23], v11 offset0:2 offset1:3
	ds_load_2addr_stride64_b32 v[24:25], v11 offset0:4 offset1:5
	;; [unrolled: 1-line block ×3, first 2 shown]
	v_add_nc_u32_e32 v2, 0x200, v2
	s_wait_xcnt 0x0
	v_add_nc_u64_e32 v[8:9], 0x800, v[8:9]
	v_add_nc_u32_e32 v11, 0x800, v11
	s_delay_alu instid0(VALU_DEP_3) | instskip(SKIP_4) | instid1(VALU_DEP_1)
	v_cmp_le_i32_e32 vcc_lo, s12, v2
	s_or_b32 s26, vcc_lo, s26
	s_wait_loadcnt_dscnt 0x703
	v_fmac_f32_e32 v10, v12, v21
	s_wait_loadcnt 0x6
	v_fmac_f32_e32 v10, v13, v28
	s_wait_loadcnt_dscnt 0x502
	s_delay_alu instid0(VALU_DEP_1) | instskip(SKIP_1) | instid1(VALU_DEP_1)
	v_fmac_f32_e32 v10, v22, v29
	s_wait_loadcnt 0x4
	v_fmac_f32_e32 v10, v23, v30
	s_wait_loadcnt_dscnt 0x301
	s_delay_alu instid0(VALU_DEP_1) | instskip(SKIP_1) | instid1(VALU_DEP_1)
	;; [unrolled: 5-line block ×3, first 2 shown]
	v_fmac_f32_e32 v10, v26, v33
	s_wait_loadcnt 0x0
	v_fmac_f32_e32 v10, v27, v34
	s_and_not1_b32 exec_lo, exec_lo, s26
	s_cbranch_execnz .LBB10_27
; %bb.28:                               ;   in Loop: Header=BB10_20 Depth=1
	s_or_b32 exec_lo, exec_lo, s26
.LBB10_29:                              ;   in Loop: Header=BB10_20 Depth=1
	s_delay_alu instid0(SALU_CYCLE_1)
	s_or_b32 exec_lo, exec_lo, s25
.LBB10_30:                              ;   in Loop: Header=BB10_20 Depth=1
	s_delay_alu instid0(SALU_CYCLE_1) | instskip(NEXT) | instid1(SALU_CYCLE_1)
	s_or_b32 exec_lo, exec_lo, s17
	s_and_b32 vcc_lo, exec_lo, s9
	s_cbranch_vccz .LBB10_37
; %bb.31:                               ;   in Loop: Header=BB10_20 Depth=1
	v_cmp_ne_u32_e32 vcc_lo, 31, v18
	v_add_co_ci_u32_e64 v2, null, 0, v18, vcc_lo
	v_cmp_gt_u32_e32 vcc_lo, 30, v18
	s_delay_alu instid0(VALU_DEP_2)
	v_lshlrev_b32_e32 v2, 2, v2
	v_cndmask_b32_e64 v8, 0, 2, vcc_lo
	v_cmp_gt_u32_e32 vcc_lo, 28, v18
	ds_bpermute_b32 v2, v2, v10
	v_add_lshl_u32 v8, v8, v18, 2
	v_cndmask_b32_e64 v9, 0, 4, vcc_lo
	v_cmp_gt_u32_e32 vcc_lo, 24, v18
	s_delay_alu instid0(VALU_DEP_2)
	v_add_lshl_u32 v9, v9, v18, 2
	s_wait_dscnt 0x0
	v_add_f32_e32 v2, v10, v2
	ds_bpermute_b32 v8, v8, v2
	s_wait_dscnt 0x0
	v_add_f32_e32 v2, v2, v8
	ds_bpermute_b32 v8, v9, v2
	v_cndmask_b32_e64 v9, 0, 8, vcc_lo
	s_wait_dscnt 0x0
	v_add_f32_e32 v2, v2, v8
	s_delay_alu instid0(VALU_DEP_2)
	v_add_lshl_u32 v8, v9, v18, 2
	ds_bpermute_b32 v8, v8, v2
	s_wait_dscnt 0x0
	v_add_f32_e32 v2, v2, v8
	ds_bpermute_b32 v8, v19, v2
	s_wait_dscnt 0x0
	v_add_f32_e32 v8, v2, v8
	s_and_saveexec_b32 s17, s0
; %bb.32:                               ;   in Loop: Header=BB10_20 Depth=1
	ds_store_b32 v14, v8 offset:8192
; %bb.33:                               ;   in Loop: Header=BB10_20 Depth=1
	s_or_b32 exec_lo, exec_lo, s17
	s_mov_b32 s25, 0
	s_mov_b32 s17, 0
	s_wait_dscnt 0x0
	s_barrier_signal -1
	s_barrier_wait -1
                                        ; implicit-def: $vgpr2
	s_and_saveexec_b32 s26, s1
	s_delay_alu instid0(SALU_CYCLE_1)
	s_xor_b32 s26, exec_lo, s26
	s_cbranch_execz .LBB10_35
; %bb.34:                               ;   in Loop: Header=BB10_20 Depth=1
	ds_load_b32 v2, v3 offset:8196
	s_mov_b32 s17, exec_lo
	s_wait_dscnt 0x0
	v_add_f32_e32 v2, v8, v2
.LBB10_35:                              ;   in Loop: Header=BB10_20 Depth=1
	s_or_b32 exec_lo, exec_lo, s26
	s_delay_alu instid0(SALU_CYCLE_1)
	s_and_b32 vcc_lo, exec_lo, s25
	s_cbranch_vccnz .LBB10_38
.LBB10_36:                              ;   in Loop: Header=BB10_20 Depth=1
	s_delay_alu instid0(VALU_DEP_1)
	v_mov_b32_e32 v10, v2
	s_and_saveexec_b32 s25, s17
	s_cbranch_execnz .LBB10_39
	s_branch .LBB10_40
.LBB10_37:                              ;   in Loop: Header=BB10_20 Depth=1
	s_mov_b32 s17, 0
                                        ; implicit-def: $vgpr2
	s_cbranch_execz .LBB10_36
.LBB10_38:                              ;   in Loop: Header=BB10_20 Depth=1
	s_and_not1_b32 s17, s17, exec_lo
	s_and_b32 s25, s1, exec_lo
	s_delay_alu instid0(SALU_CYCLE_1) | instskip(NEXT) | instid1(SALU_CYCLE_1)
	s_or_b32 s17, s17, s25
	s_and_saveexec_b32 s25, s17
.LBB10_39:                              ;   in Loop: Header=BB10_20 Depth=1
	ds_store_b32 v3, v10 offset:8192
.LBB10_40:                              ;   in Loop: Header=BB10_20 Depth=1
	s_or_b32 exec_lo, exec_lo, s25
	s_wait_dscnt 0x0
	s_barrier_signal -1
	s_barrier_wait -1
	s_and_saveexec_b32 s17, s2
	s_cbranch_execz .LBB10_19
; %bb.41:                               ;   in Loop: Header=BB10_20 Depth=1
	global_load_b32 v2, v3, s[14:15]
	ds_load_b32 v8, v3 offset:8192
	v_mov_b32_e32 v10, v0
	s_mov_b32 s26, -1
	s_wait_loadcnt 0x0
	v_xor_b32_e32 v2, 0x80000000, v2
	s_wait_dscnt 0x0
	s_delay_alu instid0(VALU_DEP_1)
	v_mul_f32_e32 v8, v8, v2
	v_mov_b32_e32 v2, v4
	s_wait_xcnt 0x0
	s_and_saveexec_b32 s25, s5
	s_cbranch_execz .LBB10_52
; %bb.42:                               ;   in Loop: Header=BB10_20 Depth=1
	v_mov_b64_e32 v[10:11], v[0:1]
	v_dual_mov_b32 v9, v8 :: v_dual_mov_b32 v13, 0
	s_mul_i32 s26, s22, s23
	s_and_saveexec_b32 s27, s6
	s_cbranch_execz .LBB10_46
; %bb.43:                               ;   in Loop: Header=BB10_20 Depth=1
	v_mov_b64_e32 v[10:11], v[0:1]
	v_dual_mov_b32 v2, v17 :: v_dual_mov_b32 v12, v4
	s_add_co_i32 s28, s26, 0x80
	s_add_co_i32 s29, s26, 0x100
	;; [unrolled: 1-line block ×3, first 2 shown]
	s_mov_b32 s30, s28
	s_mov_b32 s31, s29
	;; [unrolled: 1-line block ×5, first 2 shown]
.LBB10_44:                              ;   Parent Loop BB10_20 Depth=1
                                        ; =>  This Inner Loop Header: Depth=2
	v_dual_add_nc_u32 v13, s26, v10 :: v_dual_add_nc_u32 v21, s26, v11
	v_dual_add_nc_u32 v26, s30, v11 :: v_dual_add_nc_u32 v27, s28, v10
	s_add_co_i32 s36, s36, 8
	s_clause 0x1
	flat_load_b32 v22, v13, s[10:11] scale_offset
	flat_load_b32 v23, v21, s[10:11] scale_offset
	ds_load_2addr_stride64_b32 v[24:25], v12 offset1:1
	v_add_nc_u32_e32 v2, -4, v2
	s_wait_loadcnt_dscnt 0x0
	v_pk_fma_f32 v[22:23], v[8:9], v[24:25], v[22:23]
	s_clause 0x3
	flat_store_b32 v13, v22, s[10:11] scale_offset
	flat_store_b32 v21, v23, s[10:11] scale_offset
	flat_load_b32 v22, v27, s[10:11] scale_offset
	flat_load_b32 v23, v26, s[10:11] scale_offset
	ds_load_2addr_stride64_b32 v[24:25], v12 offset0:2 offset1:3
	v_dual_add_nc_u32 v13, s31, v11 :: v_dual_add_nc_u32 v21, s29, v10
	s_wait_loadcnt_dscnt 0x0
	v_pk_fma_f32 v[22:23], v[8:9], v[24:25], v[22:23]
	s_clause 0x3
	flat_store_b32 v27, v22, s[10:11] scale_offset
	flat_store_b32 v26, v23, s[10:11] scale_offset
	flat_load_b32 v22, v21, s[10:11] scale_offset
	flat_load_b32 v23, v13, s[10:11] scale_offset
	ds_load_2addr_stride64_b32 v[24:25], v12 offset0:4 offset1:5
	v_dual_add_nc_u32 v26, s33, v10 :: v_dual_add_nc_u32 v27, s35, v11
	v_add_nc_u32_e32 v11, 0x200, v11
	v_add_nc_u32_e32 v10, 0x200, v10
	s_wait_loadcnt_dscnt 0x0
	v_pk_fma_f32 v[22:23], v[8:9], v[24:25], v[22:23]
	s_clause 0x3
	flat_store_b32 v21, v22, s[10:11] scale_offset
	flat_store_b32 v13, v23, s[10:11] scale_offset
	flat_load_b32 v22, v26, s[10:11] scale_offset
	flat_load_b32 v23, v27, s[10:11] scale_offset
	ds_load_2addr_stride64_b32 v[24:25], v12 offset0:6 offset1:7
	v_mov_b32_e32 v13, s36
	v_cmp_eq_u32_e32 vcc_lo, 0, v2
	v_add_nc_u32_e32 v12, 0x800, v12
	s_or_b32 s34, vcc_lo, s34
	s_wait_loadcnt_dscnt 0x0
	v_pk_fma_f32 v[22:23], v[8:9], v[24:25], v[22:23]
	s_clause 0x1
	flat_store_b32 v26, v22, s[10:11] scale_offset
	flat_store_b32 v27, v23, s[10:11] scale_offset
	s_wait_xcnt 0x0
	s_and_not1_b32 exec_lo, exec_lo, s34
	s_cbranch_execnz .LBB10_44
; %bb.45:                               ;   in Loop: Header=BB10_20 Depth=1
	s_or_b32 exec_lo, exec_lo, s34
.LBB10_46:                              ;   in Loop: Header=BB10_20 Depth=1
	s_delay_alu instid0(SALU_CYCLE_1)
	s_or_b32 exec_lo, exec_lo, s27
	s_and_saveexec_b32 s27, s7
	s_cbranch_execz .LBB10_49
; %bb.47:                               ;   in Loop: Header=BB10_20 Depth=1
	v_lshl_or_b32 v2, v13, 8, v4
	v_mov_b32_e32 v12, v16
	s_mov_b32 s28, 0
.LBB10_48:                              ;   Parent Loop BB10_20 Depth=1
                                        ; =>  This Inner Loop Header: Depth=2
	v_dual_add_nc_u32 v13, s26, v10 :: v_dual_add_nc_u32 v21, s26, v11
	s_delay_alu instid0(VALU_DEP_2)
	v_add_nc_u32_e32 v12, -1, v12
	v_add_nc_u32_e32 v11, 0x80, v11
	v_add_nc_u32_e32 v10, 0x80, v10
	s_clause 0x1
	flat_load_b32 v22, v13, s[10:11] scale_offset
	flat_load_b32 v23, v21, s[10:11] scale_offset
	ds_load_2addr_stride64_b32 v[24:25], v2 offset1:1
	v_cmp_eq_u32_e32 vcc_lo, 0, v12
	v_add_nc_u32_e32 v2, 0x200, v2
	s_or_b32 s28, vcc_lo, s28
	s_wait_loadcnt_dscnt 0x0
	v_pk_fma_f32 v[22:23], v[8:9], v[24:25], v[22:23]
	s_clause 0x1
	flat_store_b32 v13, v22, s[10:11] scale_offset
	flat_store_b32 v21, v23, s[10:11] scale_offset
	s_wait_xcnt 0x0
	s_and_not1_b32 exec_lo, exec_lo, s28
	s_cbranch_execnz .LBB10_48
.LBB10_49:                              ;   in Loop: Header=BB10_20 Depth=1
	s_or_b32 exec_lo, exec_lo, s27
	s_mov_b32 s26, 0
	s_and_saveexec_b32 s27, s8
; %bb.50:                               ;   in Loop: Header=BB10_20 Depth=1
	s_mov_b32 s26, exec_lo
; %bb.51:                               ;   in Loop: Header=BB10_20 Depth=1
	s_or_b32 exec_lo, exec_lo, s27
	v_dual_mov_b32 v10, v15 :: v_dual_mov_b32 v2, v20
	s_or_not1_b32 s26, s26, exec_lo
.LBB10_52:                              ;   in Loop: Header=BB10_20 Depth=1
	s_or_b32 exec_lo, exec_lo, s25
	s_delay_alu instid0(SALU_CYCLE_1)
	s_and_b32 exec_lo, exec_lo, s26
	s_cbranch_execz .LBB10_19
; %bb.53:                               ;   in Loop: Header=BB10_20 Depth=1
	v_ashrrev_i32_e32 v11, 31, v10
	s_add_nc_u64 s[20:21], s[10:11], s[20:21]
	s_delay_alu instid0(VALU_DEP_1) | instid1(SALU_CYCLE_1)
	v_lshl_add_u64 v[12:13], v[10:11], 2, s[20:21]
	s_mov_b32 s20, 0
.LBB10_54:                              ;   Parent Loop BB10_20 Depth=1
                                        ; =>  This Inner Loop Header: Depth=2
	flat_load_b32 v9, v[12:13]
	ds_load_b32 v11, v2
	v_add_nc_u32_e32 v10, 64, v10
	s_wait_loadcnt_dscnt 0x0
	v_dual_fmac_f32 v9, v8, v11 :: v_dual_add_nc_u32 v2, 0x100, v2
	s_delay_alu instid0(VALU_DEP_2) | instskip(SKIP_4) | instid1(SALU_CYCLE_1)
	v_cmp_le_i32_e32 vcc_lo, s12, v10
	flat_store_b32 v[12:13], v9
	s_wait_xcnt 0x0
	v_add_nc_u64_e32 v[12:13], 0x100, v[12:13]
	s_or_b32 s20, vcc_lo, s20
	s_and_not1_b32 exec_lo, exec_lo, s20
	s_cbranch_execnz .LBB10_54
	s_branch .LBB10_19
.LBB10_55:
	s_endpgm
	.section	.rodata,"a",@progbits
	.p2align	6, 0x0
	.amdhsa_kernel _ZN9rocsolver6v33100L22larf_left_kernel_smallILi64EfiPKPfEEvT1_S5_T2_lS5_lPKT0_lS6_lS5_l
		.amdhsa_group_segment_fixed_size 8448
		.amdhsa_private_segment_fixed_size 0
		.amdhsa_kernarg_size 88
		.amdhsa_user_sgpr_count 2
		.amdhsa_user_sgpr_dispatch_ptr 0
		.amdhsa_user_sgpr_queue_ptr 0
		.amdhsa_user_sgpr_kernarg_segment_ptr 1
		.amdhsa_user_sgpr_dispatch_id 0
		.amdhsa_user_sgpr_kernarg_preload_length 0
		.amdhsa_user_sgpr_kernarg_preload_offset 0
		.amdhsa_user_sgpr_private_segment_size 0
		.amdhsa_wavefront_size32 1
		.amdhsa_uses_dynamic_stack 0
		.amdhsa_enable_private_segment 0
		.amdhsa_system_sgpr_workgroup_id_x 1
		.amdhsa_system_sgpr_workgroup_id_y 1
		.amdhsa_system_sgpr_workgroup_id_z 0
		.amdhsa_system_sgpr_workgroup_info 0
		.amdhsa_system_vgpr_workitem_id 0
		.amdhsa_next_free_vgpr 81
		.amdhsa_next_free_sgpr 37
		.amdhsa_named_barrier_count 0
		.amdhsa_reserve_vcc 1
		.amdhsa_float_round_mode_32 0
		.amdhsa_float_round_mode_16_64 0
		.amdhsa_float_denorm_mode_32 3
		.amdhsa_float_denorm_mode_16_64 3
		.amdhsa_fp16_overflow 0
		.amdhsa_memory_ordered 1
		.amdhsa_forward_progress 1
		.amdhsa_inst_pref_size 26
		.amdhsa_round_robin_scheduling 0
		.amdhsa_exception_fp_ieee_invalid_op 0
		.amdhsa_exception_fp_denorm_src 0
		.amdhsa_exception_fp_ieee_div_zero 0
		.amdhsa_exception_fp_ieee_overflow 0
		.amdhsa_exception_fp_ieee_underflow 0
		.amdhsa_exception_fp_ieee_inexact 0
		.amdhsa_exception_int_div_zero 0
	.end_amdhsa_kernel
	.section	.text._ZN9rocsolver6v33100L22larf_left_kernel_smallILi64EfiPKPfEEvT1_S5_T2_lS5_lPKT0_lS6_lS5_l,"axG",@progbits,_ZN9rocsolver6v33100L22larf_left_kernel_smallILi64EfiPKPfEEvT1_S5_T2_lS5_lPKT0_lS6_lS5_l,comdat
.Lfunc_end10:
	.size	_ZN9rocsolver6v33100L22larf_left_kernel_smallILi64EfiPKPfEEvT1_S5_T2_lS5_lPKT0_lS6_lS5_l, .Lfunc_end10-_ZN9rocsolver6v33100L22larf_left_kernel_smallILi64EfiPKPfEEvT1_S5_T2_lS5_lPKT0_lS6_lS5_l
                                        ; -- End function
	.set _ZN9rocsolver6v33100L22larf_left_kernel_smallILi64EfiPKPfEEvT1_S5_T2_lS5_lPKT0_lS6_lS5_l.num_vgpr, 35
	.set _ZN9rocsolver6v33100L22larf_left_kernel_smallILi64EfiPKPfEEvT1_S5_T2_lS5_lPKT0_lS6_lS5_l.num_agpr, 0
	.set _ZN9rocsolver6v33100L22larf_left_kernel_smallILi64EfiPKPfEEvT1_S5_T2_lS5_lPKT0_lS6_lS5_l.numbered_sgpr, 37
	.set _ZN9rocsolver6v33100L22larf_left_kernel_smallILi64EfiPKPfEEvT1_S5_T2_lS5_lPKT0_lS6_lS5_l.num_named_barrier, 0
	.set _ZN9rocsolver6v33100L22larf_left_kernel_smallILi64EfiPKPfEEvT1_S5_T2_lS5_lPKT0_lS6_lS5_l.private_seg_size, 0
	.set _ZN9rocsolver6v33100L22larf_left_kernel_smallILi64EfiPKPfEEvT1_S5_T2_lS5_lPKT0_lS6_lS5_l.uses_vcc, 1
	.set _ZN9rocsolver6v33100L22larf_left_kernel_smallILi64EfiPKPfEEvT1_S5_T2_lS5_lPKT0_lS6_lS5_l.uses_flat_scratch, 1
	.set _ZN9rocsolver6v33100L22larf_left_kernel_smallILi64EfiPKPfEEvT1_S5_T2_lS5_lPKT0_lS6_lS5_l.has_dyn_sized_stack, 0
	.set _ZN9rocsolver6v33100L22larf_left_kernel_smallILi64EfiPKPfEEvT1_S5_T2_lS5_lPKT0_lS6_lS5_l.has_recursion, 0
	.set _ZN9rocsolver6v33100L22larf_left_kernel_smallILi64EfiPKPfEEvT1_S5_T2_lS5_lPKT0_lS6_lS5_l.has_indirect_call, 0
	.section	.AMDGPU.csdata,"",@progbits
; Kernel info:
; codeLenInByte = 3204
; TotalNumSgprs: 39
; NumVgprs: 35
; ScratchSize: 0
; MemoryBound: 0
; FloatMode: 240
; IeeeMode: 1
; LDSByteSize: 8448 bytes/workgroup (compile time only)
; SGPRBlocks: 0
; VGPRBlocks: 5
; NumSGPRsForWavesPerEU: 39
; NumVGPRsForWavesPerEU: 81
; NamedBarCnt: 0
; Occupancy: 10
; WaveLimiterHint : 1
; COMPUTE_PGM_RSRC2:SCRATCH_EN: 0
; COMPUTE_PGM_RSRC2:USER_SGPR: 2
; COMPUTE_PGM_RSRC2:TRAP_HANDLER: 0
; COMPUTE_PGM_RSRC2:TGID_X_EN: 1
; COMPUTE_PGM_RSRC2:TGID_Y_EN: 1
; COMPUTE_PGM_RSRC2:TGID_Z_EN: 0
; COMPUTE_PGM_RSRC2:TIDIG_COMP_CNT: 0
	.section	.text._ZN9rocsolver6v33100L22larf_left_kernel_smallILi128EfiPKPfEEvT1_S5_T2_lS5_lPKT0_lS6_lS5_l,"axG",@progbits,_ZN9rocsolver6v33100L22larf_left_kernel_smallILi128EfiPKPfEEvT1_S5_T2_lS5_lPKT0_lS6_lS5_l,comdat
	.globl	_ZN9rocsolver6v33100L22larf_left_kernel_smallILi128EfiPKPfEEvT1_S5_T2_lS5_lPKT0_lS6_lS5_l ; -- Begin function _ZN9rocsolver6v33100L22larf_left_kernel_smallILi128EfiPKPfEEvT1_S5_T2_lS5_lPKT0_lS6_lS5_l
	.p2align	8
	.type	_ZN9rocsolver6v33100L22larf_left_kernel_smallILi128EfiPKPfEEvT1_S5_T2_lS5_lPKT0_lS6_lS5_l,@function
_ZN9rocsolver6v33100L22larf_left_kernel_smallILi128EfiPKPfEEvT1_S5_T2_lS5_lPKT0_lS6_lS5_l: ; @_ZN9rocsolver6v33100L22larf_left_kernel_smallILi128EfiPKPfEEvT1_S5_T2_lS5_lPKT0_lS6_lS5_l
; %bb.0:
	s_load_b256 s[4:11], s[0:1], 0x28
	s_bfe_u32 s2, ttmp6, 0x4000c
	s_and_b32 s3, ttmp6, 15
	s_add_co_i32 s2, s2, 1
	s_getreg_b32 s18, hwreg(HW_REG_IB_STS2, 6, 4)
	s_mul_i32 s2, ttmp9, s2
	s_load_b64 s[12:13], s[0:1], 0x0
	s_add_co_i32 s3, s3, s2
	s_cmp_eq_u32 s18, 0
	s_cselect_b32 s14, ttmp9, s3
	s_delay_alu instid0(SALU_CYCLE_1) | instskip(NEXT) | instid1(SALU_CYCLE_1)
	s_ashr_i32 s15, s14, 31
	s_lshl_b64 s[16:17], s[14:15], 3
	s_wait_kmcnt 0x0
	s_add_nc_u64 s[2:3], s[8:9], s[16:17]
	s_load_b64 s[8:9], s[2:3], 0x0
	s_wait_xcnt 0x0
	s_mov_b32 s3, 0
	v_cmp_gt_i32_e64 s2, s12, v0
	v_xad_u32 v4, v0, -1, s12
	s_and_saveexec_b32 s19, s2
	s_cbranch_execz .LBB11_17
; %bb.1:
	s_clause 0x1
	s_load_b128 s[24:27], s[0:1], 0x8
	s_load_b32 s20, s[0:1], 0x18
	s_sub_co_i32 s21, 1, s12
                                        ; implicit-def: $vgpr1
                                        ; implicit-def: $vgpr2
	s_wait_kmcnt 0x0
	s_add_nc_u64 s[16:17], s[24:25], s[16:17]
	s_lshl_b64 s[22:23], s[26:27], 2
	s_load_b64 s[16:17], s[16:17], 0x0
	s_mul_i32 s21, s20, s21
	s_cmp_lt_i32 s20, 1
	s_mov_b32 s24, -1
	s_cselect_b32 s21, s21, 0
	s_wait_kmcnt 0x0
	s_add_nc_u64 s[16:17], s[16:17], s[22:23]
	s_mov_b32 s22, exec_lo
	v_cmpx_lt_u32_e32 0xc7f, v4
	s_xor_b32 s22, exec_lo, s22
	s_cbranch_execnz .LBB11_4
; %bb.2:
	s_and_not1_saveexec_b32 s22, s22
	s_cbranch_execnz .LBB11_14
.LBB11_3:
	s_or_b32 exec_lo, exec_lo, s22
	s_delay_alu instid0(SALU_CYCLE_1)
	s_and_b32 exec_lo, exec_lo, s3
	s_cbranch_execnz .LBB11_15
	s_branch .LBB11_17
.LBB11_4:
	s_lshl_b32 s23, s20, 7
	v_mad_u32 v1, v0, s20, s21
	s_sub_co_i32 s3, 0, s23
	s_cmp_lt_i32 s23, 0
	v_lshrrev_b32_e32 v5, 7, v4
	s_cselect_b32 vcc_lo, -1, 0
	s_delay_alu instid0(SALU_CYCLE_1)
	s_and_b32 s25, vcc_lo, exec_lo
	s_cselect_b32 s25, s3, s23
	s_delay_alu instid0(VALU_DEP_1) | instid1(SALU_CYCLE_1)
	v_mul_lo_u32 v2, s25, v5
	s_delay_alu instid0(VALU_DEP_1) | instskip(NEXT) | instid1(VALU_DEP_1)
	v_sub_nc_u32_e32 v3, v1, v2
	v_cmp_gt_i32_e64 s3, v3, v1
	s_delay_alu instid0(VALU_DEP_1) | instskip(SKIP_1) | instid1(VALU_DEP_1)
	v_cndmask_b32_e64 v3, 0, 1, s3
	v_add_nc_u32_e32 v2, v1, v2
	v_cmp_lt_i32_e64 s3, v2, v1
	v_mul_hi_u32 v2, s25, v5
	s_delay_alu instid0(VALU_DEP_2) | instskip(NEXT) | instid1(VALU_DEP_1)
	v_cndmask_b32_e64 v1, 0, 1, s3
	v_cndmask_b32_e32 v1, v1, v3, vcc_lo
	s_delay_alu instid0(VALU_DEP_3) | instskip(NEXT) | instid1(VALU_DEP_2)
	v_cmp_eq_u32_e64 s3, 0, v2
	v_and_b32_e32 v1, 1, v1
	s_delay_alu instid0(VALU_DEP_1) | instskip(SKIP_2) | instid1(SALU_CYCLE_1)
	v_cmp_eq_u32_e32 vcc_lo, 1, v1
	v_mov_b32_e32 v1, v0
	s_xor_b32 s25, vcc_lo, -1
	s_and_b32 s25, s25, s3
	s_delay_alu instid0(SALU_CYCLE_1)
	s_and_saveexec_b32 s3, s25
	s_cbranch_execz .LBB11_13
; %bb.5:
	v_dual_mov_b32 v9, 0 :: v_dual_add_nc_u32 v2, -1, v5
	v_or_b32_e32 v1, 0x80, v0
	s_delay_alu instid0(VALU_DEP_2) | instskip(SKIP_1) | instid1(VALU_DEP_2)
	v_lshrrev_b32_e32 v3, 1, v2
	v_cmp_lt_u32_e32 vcc_lo, 5, v2
	v_add_nc_u32_e32 v6, 1, v3
	s_delay_alu instid0(VALU_DEP_4)
	v_mov_b64_e32 v[2:3], v[0:1]
	s_and_saveexec_b32 s24, vcc_lo
	s_cbranch_execz .LBB11_9
; %bb.6:
	v_mov_b64_e32 v[2:3], v[0:1]
	v_dual_lshlrev_b32 v8, 2, v0 :: v_dual_bitop2_b32 v7, -4, v6 bitop3:0x40
	s_mov_b32 s25, 0
	s_mov_b32 s26, 0
.LBB11_7:                               ; =>This Inner Loop Header: Depth=1
	s_delay_alu instid0(VALU_DEP_2) | instskip(NEXT) | instid1(VALU_DEP_3)
	v_mad_u32 v1, v2, s20, s21
	v_mad_u32 v9, v3, s20, s21
	s_add_co_i32 s26, s26, 8
	v_add_nc_u32_e32 v7, -4, v7
	s_clause 0x1
	flat_load_b32 v10, v1, s[16:17] scale_offset
	flat_load_b32 v11, v9, s[16:17] scale_offset
	s_wait_xcnt 0x1
	v_add_nc_u32_e32 v1, 0x100, v2
	s_wait_xcnt 0x0
	v_add_nc_u32_e32 v9, 0x100, v3
	s_delay_alu instid0(VALU_DEP_2) | instskip(NEXT) | instid1(VALU_DEP_2)
	v_mad_u32 v1, v1, s20, s21
	v_mad_u32 v9, v9, s20, s21
	s_wait_loadcnt_dscnt 0x0
	ds_store_2addr_stride64_b32 v8, v10, v11 offset1:2
	s_clause 0x1
	flat_load_b32 v10, v1, s[16:17] scale_offset
	flat_load_b32 v11, v9, s[16:17] scale_offset
	s_wait_xcnt 0x1
	v_add_nc_u32_e32 v1, 0x200, v2
	s_wait_xcnt 0x0
	v_add_nc_u32_e32 v9, 0x200, v3
	s_delay_alu instid0(VALU_DEP_2) | instskip(NEXT) | instid1(VALU_DEP_2)
	v_mad_u32 v1, v1, s20, s21
	v_mad_u32 v9, v9, s20, s21
	s_wait_loadcnt_dscnt 0x0
	ds_store_2addr_stride64_b32 v8, v10, v11 offset0:4 offset1:6
	s_clause 0x1
	flat_load_b32 v10, v1, s[16:17] scale_offset
	flat_load_b32 v11, v9, s[16:17] scale_offset
	s_wait_xcnt 0x1
	v_add_nc_u32_e32 v1, 0x300, v2
	s_wait_xcnt 0x0
	v_add_nc_u32_e32 v9, 0x300, v3
	v_add_nc_u32_e32 v3, 0x400, v3
	;; [unrolled: 1-line block ×3, first 2 shown]
	v_mad_u32 v1, v1, s20, s21
	s_delay_alu instid0(VALU_DEP_4)
	v_mad_u32 v9, v9, s20, s21
	s_wait_loadcnt_dscnt 0x0
	ds_store_2addr_stride64_b32 v8, v10, v11 offset0:8 offset1:10
	s_clause 0x1
	flat_load_b32 v10, v1, s[16:17] scale_offset
	flat_load_b32 v11, v9, s[16:17] scale_offset
	s_wait_xcnt 0x0
	v_mov_b32_e32 v9, s26
	v_cmp_eq_u32_e32 vcc_lo, 0, v7
	s_or_b32 s25, vcc_lo, s25
	s_wait_loadcnt_dscnt 0x0
	ds_store_2addr_stride64_b32 v8, v10, v11 offset0:12 offset1:14
	v_add_nc_u32_e32 v8, 0x1000, v8
	s_and_not1_b32 exec_lo, exec_lo, s25
	s_cbranch_execnz .LBB11_7
; %bb.8:
	s_or_b32 exec_lo, exec_lo, s25
.LBB11_9:
	s_delay_alu instid0(SALU_CYCLE_1) | instskip(SKIP_3) | instid1(VALU_DEP_1)
	s_or_b32 exec_lo, exec_lo, s24
	v_and_b32_e32 v1, 3, v6
	s_mov_b32 s25, 0
	s_mov_b32 s24, exec_lo
	v_cmpx_ne_u32_e32 0, v1
	s_cbranch_execz .LBB11_12
; %bb.10:
	v_lshlrev_b32_e32 v6, 2, v0
	s_delay_alu instid0(VALU_DEP_1)
	v_lshl_or_b32 v6, v9, 9, v6
.LBB11_11:                              ; =>This Inner Loop Header: Depth=1
	v_mad_u32 v7, v2, s20, s21
	v_mad_u32 v8, v3, s20, s21
	v_add_nc_u32_e32 v1, -1, v1
	v_add_nc_u32_e32 v3, 0x100, v3
	v_add_nc_u32_e32 v2, 0x100, v2
	s_clause 0x1
	flat_load_b32 v9, v7, s[16:17] scale_offset
	flat_load_b32 v10, v8, s[16:17] scale_offset
	v_cmp_eq_u32_e32 vcc_lo, 0, v1
	s_or_b32 s25, vcc_lo, s25
	s_wait_loadcnt_dscnt 0x0
	ds_store_2addr_stride64_b32 v6, v9, v10 offset1:2
	v_add_nc_u32_e32 v6, 0x400, v6
	s_and_not1_b32 exec_lo, exec_lo, s25
	s_cbranch_execnz .LBB11_11
.LBB11_12:
	s_or_b32 exec_lo, exec_lo, s24
	v_add_nc_u32_e32 v1, 1, v5
	s_delay_alu instid0(VALU_DEP_1) | instskip(NEXT) | instid1(VALU_DEP_1)
	v_and_b32_e32 v2, 0x3fffffe, v1
	v_cmp_ne_u32_e32 vcc_lo, v1, v2
	v_lshl_or_b32 v1, v2, 7, v0
	s_or_not1_b32 s24, vcc_lo, exec_lo
.LBB11_13:
	s_or_b32 exec_lo, exec_lo, s3
	v_mov_b32_e32 v2, s23
	s_and_b32 s3, s24, exec_lo
	s_and_not1_saveexec_b32 s22, s22
	s_cbranch_execz .LBB11_3
.LBB11_14:
	s_lshl_b32 s23, s20, 7
	s_or_b32 s3, s3, exec_lo
	v_dual_mov_b32 v2, s23 :: v_dual_mov_b32 v1, v0
	s_or_b32 exec_lo, exec_lo, s22
	s_delay_alu instid0(SALU_CYCLE_1)
	s_and_b32 exec_lo, exec_lo, s3
	s_cbranch_execz .LBB11_17
.LBB11_15:
	s_delay_alu instid0(VALU_DEP_1)
	v_mad_u32 v3, v1, s20, s21
	v_lshlrev_b32_e32 v5, 2, v1
	s_mov_b32 s3, 0
.LBB11_16:                              ; =>This Inner Loop Header: Depth=1
	flat_load_b32 v6, v3, s[16:17] scale_offset
	v_add_nc_u32_e32 v1, 0x80, v1
	s_wait_xcnt 0x0
	v_add_nc_u32_e32 v3, v3, v2
	s_delay_alu instid0(VALU_DEP_2)
	v_cmp_le_i32_e32 vcc_lo, s12, v1
	s_or_b32 s3, vcc_lo, s3
	s_wait_loadcnt_dscnt 0x0
	ds_store_b32 v5, v6
	v_add_nc_u32_e32 v5, 0x200, v5
	s_and_not1_b32 exec_lo, exec_lo, s3
	s_cbranch_execnz .LBB11_16
.LBB11_17:
	s_or_b32 exec_lo, exec_lo, s19
	s_bfe_u32 s3, ttmp6, 0x40010
	s_bfe_u32 s16, ttmp6, 0x40004
	s_add_co_i32 s3, s3, 1
	s_wait_dscnt 0x0
	s_mul_i32 s3, ttmp7, s3
	s_barrier_signal -1
	s_add_co_i32 s16, s16, s3
	s_cmp_eq_u32 s18, 0
	s_barrier_wait -1
	s_cselect_b32 s22, ttmp7, s16
	s_delay_alu instid0(SALU_CYCLE_1)
	s_cmp_ge_i32 s22, s13
	s_cbranch_scc1 .LBB11_55
; %bb.18:
	v_lshrrev_b32_e32 v1, 7, v4
	v_and_b32_e32 v2, 31, v0
	s_load_b32 s23, s[0:1], 0x48
	s_wait_xcnt 0x0
	s_lshl_b64 s[0:1], s[10:11], 2
	s_mul_u64 s[6:7], s[6:7], s[14:15]
	v_dual_add_nc_u32 v6, 1, v1 :: v_dual_lshrrev_b32 v14, 3, v0
	s_wait_kmcnt 0x0
	s_add_nc_u64 s[10:11], s[8:9], s[0:1]
	s_lshl_b64 s[0:1], s[6:7], 2
	v_mbcnt_lo_u32_b32 v18, -1, 0
	s_add_nc_u64 s[14:15], s[4:5], s[0:1]
	v_cmp_eq_u32_e64 s0, 0, v2
	v_dual_add_nc_u32 v5, -1, v1 :: v_dual_bitop2_b32 v2, 7, v6 bitop3:0x40
	v_and_b32_e32 v7, 0x3fffffe, v6
	v_mov_b32_e32 v3, 0
	v_cmp_lt_u32_e64 s4, 0x37f, v4
	v_cmp_lt_u32_e64 s5, 0x7f, v4
	v_lshrrev_b32_e32 v1, 1, v5
	v_cmp_lt_u32_e64 s6, 5, v5
	v_lshlrev_b32_e32 v4, 2, v0
	v_lshl_or_b32 v15, v7, 7, v0
	v_cmp_ne_u32_e64 s8, v6, v7
	v_add_nc_u32_e32 v8, 1, v1
	v_cmp_eq_u32_e64 s1, 0, v0
	v_mov_b32_e32 v5, v3
	v_cmp_ne_u32_e64 s3, 0, v2
	v_or_b32_e32 v1, 0x80, v0
	v_and_b32_e32 v16, 3, v8
	v_and_b32_e32 v17, -4, v8
	v_add_nc_u64_e32 v[6:7], s[10:11], v[4:5]
	v_lshlrev_b32_e32 v5, 2, v2
	v_lshl_or_b32 v19, v18, 2, 64
	v_cmp_ne_u32_e64 s7, 0, v16
	v_mov_b32_e32 v20, 0x2004
	s_cmp_gt_i32 s12, 1
	s_mul_i32 s16, s22, s23
	s_cselect_b32 s9, -1, 0
	s_lshl_b32 s24, s23, 6
	s_add_nc_u64 s[18:19], s[10:11], 0xe00
	s_branch .LBB11_20
.LBB11_19:                              ;   in Loop: Header=BB11_20 Depth=1
	s_or_b32 exec_lo, exec_lo, s17
	s_add_co_i32 s22, s22, 64
	s_add_co_i32 s16, s16, s24
	s_cmp_ge_i32 s22, s13
	s_cbranch_scc1 .LBB11_55
.LBB11_20:                              ; =>This Loop Header: Depth=1
                                        ;     Child Loop BB11_23 Depth 2
                                        ;     Child Loop BB11_27 Depth 2
	;; [unrolled: 1-line block ×5, first 2 shown]
	v_mov_b32_e32 v10, 0
	s_ashr_i32 s17, s16, 31
	s_delay_alu instid0(SALU_CYCLE_1)
	s_lshl_b64 s[20:21], s[16:17], 2
	s_and_saveexec_b32 s17, s2
	s_cbranch_execz .LBB11_30
; %bb.21:                               ;   in Loop: Header=BB11_20 Depth=1
	v_dual_mov_b32 v10, 0 :: v_dual_mov_b32 v2, v0
	s_and_saveexec_b32 s25, s3
	s_cbranch_execz .LBB11_25
; %bb.22:                               ;   in Loop: Header=BB11_20 Depth=1
	v_add_nc_u64_e32 v[8:9], s[20:21], v[6:7]
	v_dual_mov_b32 v10, 0 :: v_dual_mov_b32 v11, v5
	v_dual_mov_b32 v12, v4 :: v_dual_mov_b32 v2, v0
	s_mov_b32 s26, 0
.LBB11_23:                              ;   Parent Loop BB11_20 Depth=1
                                        ; =>  This Inner Loop Header: Depth=2
	flat_load_b32 v13, v[8:9]
	ds_load_b32 v21, v12
	v_add_nc_u32_e32 v11, -4, v11
	s_wait_xcnt 0x0
	v_add_nc_u64_e32 v[8:9], 0x200, v[8:9]
	v_add_nc_u32_e32 v2, 0x80, v2
	v_add_nc_u32_e32 v12, 0x200, v12
	s_wait_loadcnt_dscnt 0x0
	v_fmac_f32_e32 v10, v21, v13
	v_cmp_eq_u32_e32 vcc_lo, 0, v11
	s_or_b32 s26, vcc_lo, s26
	s_delay_alu instid0(SALU_CYCLE_1)
	s_and_not1_b32 exec_lo, exec_lo, s26
	s_cbranch_execnz .LBB11_23
; %bb.24:                               ;   in Loop: Header=BB11_20 Depth=1
	s_or_b32 exec_lo, exec_lo, s26
.LBB11_25:                              ;   in Loop: Header=BB11_20 Depth=1
	s_delay_alu instid0(SALU_CYCLE_1)
	s_or_b32 exec_lo, exec_lo, s25
	s_and_saveexec_b32 s25, s4
	s_cbranch_execz .LBB11_29
; %bb.26:                               ;   in Loop: Header=BB11_20 Depth=1
	s_add_nc_u64 s[26:27], s[18:19], s[20:21]
	v_lshlrev_b32_e32 v11, 2, v2
	v_lshl_add_u64 v[8:9], v[2:3], 2, s[26:27]
	s_mov_b32 s26, 0
.LBB11_27:                              ;   Parent Loop BB11_20 Depth=1
                                        ; =>  This Inner Loop Header: Depth=2
	s_clause 0x7
	flat_load_b32 v21, v[8:9] offset:-3584
	flat_load_b32 v26, v[8:9] offset:-3072
	;; [unrolled: 1-line block ×7, first 2 shown]
	flat_load_b32 v32, v[8:9]
	ds_load_2addr_stride64_b32 v[12:13], v11 offset1:2
	ds_load_2addr_stride64_b32 v[22:23], v11 offset0:4 offset1:6
	ds_load_2addr_stride64_b32 v[24:25], v11 offset0:8 offset1:10
	v_add_nc_u32_e32 v2, 0x400, v2
	s_wait_xcnt 0x0
	v_add_nc_u64_e32 v[8:9], 0x1000, v[8:9]
	s_delay_alu instid0(VALU_DEP_2) | instskip(SKIP_4) | instid1(VALU_DEP_1)
	v_cmp_le_i32_e32 vcc_lo, s12, v2
	s_or_b32 s26, vcc_lo, s26
	s_wait_loadcnt_dscnt 0x702
	v_fmac_f32_e32 v10, v12, v21
	s_wait_loadcnt 0x6
	v_fmac_f32_e32 v10, v13, v26
	ds_load_2addr_stride64_b32 v[12:13], v11 offset0:12 offset1:14
	v_add_nc_u32_e32 v11, 0x1000, v11
	s_wait_loadcnt_dscnt 0x502
	v_fmac_f32_e32 v10, v22, v27
	s_wait_loadcnt 0x4
	s_delay_alu instid0(VALU_DEP_1) | instskip(SKIP_1) | instid1(VALU_DEP_1)
	v_fmac_f32_e32 v10, v23, v28
	s_wait_loadcnt_dscnt 0x301
	v_fmac_f32_e32 v10, v24, v29
	s_wait_loadcnt 0x2
	s_delay_alu instid0(VALU_DEP_1) | instskip(SKIP_1) | instid1(VALU_DEP_1)
	v_fmac_f32_e32 v10, v25, v30
	s_wait_loadcnt_dscnt 0x100
	v_fmac_f32_e32 v10, v12, v31
	s_wait_loadcnt 0x0
	s_delay_alu instid0(VALU_DEP_1)
	v_fmac_f32_e32 v10, v13, v32
	s_and_not1_b32 exec_lo, exec_lo, s26
	s_cbranch_execnz .LBB11_27
; %bb.28:                               ;   in Loop: Header=BB11_20 Depth=1
	s_or_b32 exec_lo, exec_lo, s26
.LBB11_29:                              ;   in Loop: Header=BB11_20 Depth=1
	s_delay_alu instid0(SALU_CYCLE_1)
	s_or_b32 exec_lo, exec_lo, s25
.LBB11_30:                              ;   in Loop: Header=BB11_20 Depth=1
	s_delay_alu instid0(SALU_CYCLE_1) | instskip(NEXT) | instid1(SALU_CYCLE_1)
	s_or_b32 exec_lo, exec_lo, s17
	s_and_b32 vcc_lo, exec_lo, s9
	s_cbranch_vccz .LBB11_37
; %bb.31:                               ;   in Loop: Header=BB11_20 Depth=1
	v_cmp_ne_u32_e32 vcc_lo, 31, v18
	v_add_co_ci_u32_e64 v2, null, 0, v18, vcc_lo
	v_cmp_gt_u32_e32 vcc_lo, 30, v18
	s_delay_alu instid0(VALU_DEP_2)
	v_lshlrev_b32_e32 v2, 2, v2
	v_cndmask_b32_e64 v8, 0, 2, vcc_lo
	v_cmp_gt_u32_e32 vcc_lo, 28, v18
	ds_bpermute_b32 v2, v2, v10
	v_add_lshl_u32 v8, v8, v18, 2
	v_cndmask_b32_e64 v9, 0, 4, vcc_lo
	v_cmp_gt_u32_e32 vcc_lo, 24, v18
	s_delay_alu instid0(VALU_DEP_2)
	v_add_lshl_u32 v9, v9, v18, 2
	s_wait_dscnt 0x0
	v_add_f32_e32 v2, v10, v2
	ds_bpermute_b32 v8, v8, v2
	s_wait_dscnt 0x0
	v_add_f32_e32 v2, v2, v8
	ds_bpermute_b32 v8, v9, v2
	v_cndmask_b32_e64 v9, 0, 8, vcc_lo
	s_wait_dscnt 0x0
	v_add_f32_e32 v2, v2, v8
	s_delay_alu instid0(VALU_DEP_2)
	v_add_lshl_u32 v8, v9, v18, 2
	ds_bpermute_b32 v8, v8, v2
	s_wait_dscnt 0x0
	v_add_f32_e32 v2, v2, v8
	ds_bpermute_b32 v8, v19, v2
	s_wait_dscnt 0x0
	v_add_f32_e32 v8, v2, v8
	s_and_saveexec_b32 s17, s0
; %bb.32:                               ;   in Loop: Header=BB11_20 Depth=1
	ds_store_b32 v14, v8 offset:8192
; %bb.33:                               ;   in Loop: Header=BB11_20 Depth=1
	s_or_b32 exec_lo, exec_lo, s17
	s_mov_b32 s25, 0
	s_mov_b32 s17, 0
	s_wait_dscnt 0x0
	s_barrier_signal -1
	s_barrier_wait -1
                                        ; implicit-def: $vgpr2
	s_and_saveexec_b32 s26, s1
	s_delay_alu instid0(SALU_CYCLE_1)
	s_xor_b32 s26, exec_lo, s26
	s_cbranch_execz .LBB11_35
; %bb.34:                               ;   in Loop: Header=BB11_20 Depth=1
	ds_load_2addr_b32 v[12:13], v20 offset1:1
	ds_load_b32 v2, v3 offset:8204
	s_mov_b32 s17, exec_lo
	s_wait_dscnt 0x1
	v_add_f32_e32 v8, v8, v12
	s_delay_alu instid0(VALU_DEP_1) | instskip(SKIP_1) | instid1(VALU_DEP_1)
	v_add_f32_e32 v8, v8, v13
	s_wait_dscnt 0x0
	v_add_f32_e32 v2, v8, v2
.LBB11_35:                              ;   in Loop: Header=BB11_20 Depth=1
	s_or_b32 exec_lo, exec_lo, s26
	s_delay_alu instid0(SALU_CYCLE_1)
	s_and_b32 vcc_lo, exec_lo, s25
	s_cbranch_vccnz .LBB11_38
.LBB11_36:                              ;   in Loop: Header=BB11_20 Depth=1
	s_delay_alu instid0(VALU_DEP_1)
	v_mov_b32_e32 v10, v2
	s_and_saveexec_b32 s25, s17
	s_cbranch_execnz .LBB11_39
	s_branch .LBB11_40
.LBB11_37:                              ;   in Loop: Header=BB11_20 Depth=1
	s_mov_b32 s17, 0
                                        ; implicit-def: $vgpr2
	s_cbranch_execz .LBB11_36
.LBB11_38:                              ;   in Loop: Header=BB11_20 Depth=1
	s_and_not1_b32 s17, s17, exec_lo
	s_and_b32 s25, s1, exec_lo
	s_delay_alu instid0(SALU_CYCLE_1) | instskip(NEXT) | instid1(SALU_CYCLE_1)
	s_or_b32 s17, s17, s25
	s_and_saveexec_b32 s25, s17
.LBB11_39:                              ;   in Loop: Header=BB11_20 Depth=1
	ds_store_b32 v3, v10 offset:8192
.LBB11_40:                              ;   in Loop: Header=BB11_20 Depth=1
	s_or_b32 exec_lo, exec_lo, s25
	s_wait_dscnt 0x0
	s_barrier_signal -1
	s_barrier_wait -1
	s_and_saveexec_b32 s17, s2
	s_cbranch_execz .LBB11_19
; %bb.41:                               ;   in Loop: Header=BB11_20 Depth=1
	global_load_b32 v2, v3, s[14:15]
	ds_load_b32 v8, v3 offset:8192
	v_mov_b32_e32 v10, v0
	s_mov_b32 s26, -1
	s_wait_loadcnt 0x0
	v_xor_b32_e32 v2, 0x80000000, v2
	s_wait_dscnt 0x0
	s_delay_alu instid0(VALU_DEP_1)
	v_mul_f32_e32 v8, v8, v2
	v_mov_b32_e32 v2, v4
	s_wait_xcnt 0x0
	s_and_saveexec_b32 s25, s5
	s_cbranch_execz .LBB11_52
; %bb.42:                               ;   in Loop: Header=BB11_20 Depth=1
	v_mov_b64_e32 v[10:11], v[0:1]
	v_dual_mov_b32 v9, v8 :: v_dual_mov_b32 v13, 0
	s_mul_i32 s26, s22, s23
	s_and_saveexec_b32 s27, s6
	s_cbranch_execz .LBB11_46
; %bb.43:                               ;   in Loop: Header=BB11_20 Depth=1
	v_mov_b64_e32 v[10:11], v[0:1]
	v_dual_mov_b32 v2, v17 :: v_dual_mov_b32 v12, v4
	s_add_co_i32 s28, s26, 0x100
	s_add_co_i32 s29, s26, 0x200
	;; [unrolled: 1-line block ×3, first 2 shown]
	s_mov_b32 s30, s28
	s_mov_b32 s31, s29
	;; [unrolled: 1-line block ×5, first 2 shown]
.LBB11_44:                              ;   Parent Loop BB11_20 Depth=1
                                        ; =>  This Inner Loop Header: Depth=2
	v_dual_add_nc_u32 v13, s26, v10 :: v_dual_add_nc_u32 v21, s26, v11
	v_dual_add_nc_u32 v26, s30, v11 :: v_dual_add_nc_u32 v27, s28, v10
	s_add_co_i32 s36, s36, 8
	s_clause 0x1
	flat_load_b32 v22, v13, s[10:11] scale_offset
	flat_load_b32 v23, v21, s[10:11] scale_offset
	ds_load_2addr_stride64_b32 v[24:25], v12 offset1:2
	v_add_nc_u32_e32 v2, -4, v2
	s_wait_loadcnt_dscnt 0x0
	v_pk_fma_f32 v[22:23], v[8:9], v[24:25], v[22:23]
	s_clause 0x3
	flat_store_b32 v13, v22, s[10:11] scale_offset
	flat_store_b32 v21, v23, s[10:11] scale_offset
	flat_load_b32 v22, v27, s[10:11] scale_offset
	flat_load_b32 v23, v26, s[10:11] scale_offset
	ds_load_2addr_stride64_b32 v[24:25], v12 offset0:4 offset1:6
	v_dual_add_nc_u32 v13, s31, v11 :: v_dual_add_nc_u32 v21, s29, v10
	s_wait_loadcnt_dscnt 0x0
	v_pk_fma_f32 v[22:23], v[8:9], v[24:25], v[22:23]
	s_clause 0x3
	flat_store_b32 v27, v22, s[10:11] scale_offset
	flat_store_b32 v26, v23, s[10:11] scale_offset
	flat_load_b32 v22, v21, s[10:11] scale_offset
	flat_load_b32 v23, v13, s[10:11] scale_offset
	ds_load_2addr_stride64_b32 v[24:25], v12 offset0:8 offset1:10
	v_dual_add_nc_u32 v26, s33, v10 :: v_dual_add_nc_u32 v27, s35, v11
	v_add_nc_u32_e32 v11, 0x400, v11
	v_add_nc_u32_e32 v10, 0x400, v10
	s_wait_loadcnt_dscnt 0x0
	v_pk_fma_f32 v[22:23], v[8:9], v[24:25], v[22:23]
	s_clause 0x3
	flat_store_b32 v21, v22, s[10:11] scale_offset
	flat_store_b32 v13, v23, s[10:11] scale_offset
	flat_load_b32 v22, v26, s[10:11] scale_offset
	flat_load_b32 v23, v27, s[10:11] scale_offset
	ds_load_2addr_stride64_b32 v[24:25], v12 offset0:12 offset1:14
	v_mov_b32_e32 v13, s36
	v_cmp_eq_u32_e32 vcc_lo, 0, v2
	v_add_nc_u32_e32 v12, 0x1000, v12
	s_or_b32 s34, vcc_lo, s34
	s_wait_loadcnt_dscnt 0x0
	v_pk_fma_f32 v[22:23], v[8:9], v[24:25], v[22:23]
	s_clause 0x1
	flat_store_b32 v26, v22, s[10:11] scale_offset
	flat_store_b32 v27, v23, s[10:11] scale_offset
	s_wait_xcnt 0x0
	s_and_not1_b32 exec_lo, exec_lo, s34
	s_cbranch_execnz .LBB11_44
; %bb.45:                               ;   in Loop: Header=BB11_20 Depth=1
	s_or_b32 exec_lo, exec_lo, s34
.LBB11_46:                              ;   in Loop: Header=BB11_20 Depth=1
	s_delay_alu instid0(SALU_CYCLE_1)
	s_or_b32 exec_lo, exec_lo, s27
	s_and_saveexec_b32 s27, s7
	s_cbranch_execz .LBB11_49
; %bb.47:                               ;   in Loop: Header=BB11_20 Depth=1
	v_lshl_or_b32 v2, v13, 9, v4
	v_mov_b32_e32 v12, v16
	s_mov_b32 s28, 0
.LBB11_48:                              ;   Parent Loop BB11_20 Depth=1
                                        ; =>  This Inner Loop Header: Depth=2
	v_dual_add_nc_u32 v13, s26, v10 :: v_dual_add_nc_u32 v21, s26, v11
	s_delay_alu instid0(VALU_DEP_2)
	v_add_nc_u32_e32 v12, -1, v12
	v_add_nc_u32_e32 v11, 0x100, v11
	v_add_nc_u32_e32 v10, 0x100, v10
	s_clause 0x1
	flat_load_b32 v22, v13, s[10:11] scale_offset
	flat_load_b32 v23, v21, s[10:11] scale_offset
	ds_load_2addr_stride64_b32 v[24:25], v2 offset1:2
	v_cmp_eq_u32_e32 vcc_lo, 0, v12
	v_add_nc_u32_e32 v2, 0x400, v2
	s_or_b32 s28, vcc_lo, s28
	s_wait_loadcnt_dscnt 0x0
	v_pk_fma_f32 v[22:23], v[8:9], v[24:25], v[22:23]
	s_clause 0x1
	flat_store_b32 v13, v22, s[10:11] scale_offset
	flat_store_b32 v21, v23, s[10:11] scale_offset
	s_wait_xcnt 0x0
	s_and_not1_b32 exec_lo, exec_lo, s28
	s_cbranch_execnz .LBB11_48
.LBB11_49:                              ;   in Loop: Header=BB11_20 Depth=1
	s_or_b32 exec_lo, exec_lo, s27
	s_mov_b32 s26, 0
                                        ; implicit-def: $vgpr2
	s_and_saveexec_b32 s27, s8
; %bb.50:                               ;   in Loop: Header=BB11_20 Depth=1
	v_lshlrev_b32_e32 v2, 2, v15
	s_mov_b32 s26, exec_lo
; %bb.51:                               ;   in Loop: Header=BB11_20 Depth=1
	s_or_b32 exec_lo, exec_lo, s27
	v_mov_b32_e32 v10, v15
	s_or_not1_b32 s26, s26, exec_lo
.LBB11_52:                              ;   in Loop: Header=BB11_20 Depth=1
	s_or_b32 exec_lo, exec_lo, s25
	s_delay_alu instid0(SALU_CYCLE_1)
	s_and_b32 exec_lo, exec_lo, s26
	s_cbranch_execz .LBB11_19
; %bb.53:                               ;   in Loop: Header=BB11_20 Depth=1
	v_ashrrev_i32_e32 v11, 31, v10
	s_add_nc_u64 s[20:21], s[10:11], s[20:21]
	s_delay_alu instid0(VALU_DEP_1) | instid1(SALU_CYCLE_1)
	v_lshl_add_u64 v[12:13], v[10:11], 2, s[20:21]
	s_mov_b32 s20, 0
.LBB11_54:                              ;   Parent Loop BB11_20 Depth=1
                                        ; =>  This Inner Loop Header: Depth=2
	flat_load_b32 v9, v[12:13]
	ds_load_b32 v11, v2
	v_add_nc_u32_e32 v10, 0x80, v10
	s_wait_loadcnt_dscnt 0x0
	v_dual_fmac_f32 v9, v8, v11 :: v_dual_add_nc_u32 v2, 0x200, v2
	s_delay_alu instid0(VALU_DEP_2) | instskip(SKIP_4) | instid1(SALU_CYCLE_1)
	v_cmp_le_i32_e32 vcc_lo, s12, v10
	flat_store_b32 v[12:13], v9
	s_wait_xcnt 0x0
	v_add_nc_u64_e32 v[12:13], 0x200, v[12:13]
	s_or_b32 s20, vcc_lo, s20
	s_and_not1_b32 exec_lo, exec_lo, s20
	s_cbranch_execnz .LBB11_54
	s_branch .LBB11_19
.LBB11_55:
	s_endpgm
	.section	.rodata,"a",@progbits
	.p2align	6, 0x0
	.amdhsa_kernel _ZN9rocsolver6v33100L22larf_left_kernel_smallILi128EfiPKPfEEvT1_S5_T2_lS5_lPKT0_lS6_lS5_l
		.amdhsa_group_segment_fixed_size 8704
		.amdhsa_private_segment_fixed_size 0
		.amdhsa_kernarg_size 88
		.amdhsa_user_sgpr_count 2
		.amdhsa_user_sgpr_dispatch_ptr 0
		.amdhsa_user_sgpr_queue_ptr 0
		.amdhsa_user_sgpr_kernarg_segment_ptr 1
		.amdhsa_user_sgpr_dispatch_id 0
		.amdhsa_user_sgpr_kernarg_preload_length 0
		.amdhsa_user_sgpr_kernarg_preload_offset 0
		.amdhsa_user_sgpr_private_segment_size 0
		.amdhsa_wavefront_size32 1
		.amdhsa_uses_dynamic_stack 0
		.amdhsa_enable_private_segment 0
		.amdhsa_system_sgpr_workgroup_id_x 1
		.amdhsa_system_sgpr_workgroup_id_y 1
		.amdhsa_system_sgpr_workgroup_id_z 0
		.amdhsa_system_sgpr_workgroup_info 0
		.amdhsa_system_vgpr_workitem_id 0
		.amdhsa_next_free_vgpr 33
		.amdhsa_next_free_sgpr 37
		.amdhsa_named_barrier_count 0
		.amdhsa_reserve_vcc 1
		.amdhsa_float_round_mode_32 0
		.amdhsa_float_round_mode_16_64 0
		.amdhsa_float_denorm_mode_32 3
		.amdhsa_float_denorm_mode_16_64 3
		.amdhsa_fp16_overflow 0
		.amdhsa_memory_ordered 1
		.amdhsa_forward_progress 1
		.amdhsa_inst_pref_size 26
		.amdhsa_round_robin_scheduling 0
		.amdhsa_exception_fp_ieee_invalid_op 0
		.amdhsa_exception_fp_denorm_src 0
		.amdhsa_exception_fp_ieee_div_zero 0
		.amdhsa_exception_fp_ieee_overflow 0
		.amdhsa_exception_fp_ieee_underflow 0
		.amdhsa_exception_fp_ieee_inexact 0
		.amdhsa_exception_int_div_zero 0
	.end_amdhsa_kernel
	.section	.text._ZN9rocsolver6v33100L22larf_left_kernel_smallILi128EfiPKPfEEvT1_S5_T2_lS5_lPKT0_lS6_lS5_l,"axG",@progbits,_ZN9rocsolver6v33100L22larf_left_kernel_smallILi128EfiPKPfEEvT1_S5_T2_lS5_lPKT0_lS6_lS5_l,comdat
.Lfunc_end11:
	.size	_ZN9rocsolver6v33100L22larf_left_kernel_smallILi128EfiPKPfEEvT1_S5_T2_lS5_lPKT0_lS6_lS5_l, .Lfunc_end11-_ZN9rocsolver6v33100L22larf_left_kernel_smallILi128EfiPKPfEEvT1_S5_T2_lS5_lPKT0_lS6_lS5_l
                                        ; -- End function
	.set _ZN9rocsolver6v33100L22larf_left_kernel_smallILi128EfiPKPfEEvT1_S5_T2_lS5_lPKT0_lS6_lS5_l.num_vgpr, 33
	.set _ZN9rocsolver6v33100L22larf_left_kernel_smallILi128EfiPKPfEEvT1_S5_T2_lS5_lPKT0_lS6_lS5_l.num_agpr, 0
	.set _ZN9rocsolver6v33100L22larf_left_kernel_smallILi128EfiPKPfEEvT1_S5_T2_lS5_lPKT0_lS6_lS5_l.numbered_sgpr, 37
	.set _ZN9rocsolver6v33100L22larf_left_kernel_smallILi128EfiPKPfEEvT1_S5_T2_lS5_lPKT0_lS6_lS5_l.num_named_barrier, 0
	.set _ZN9rocsolver6v33100L22larf_left_kernel_smallILi128EfiPKPfEEvT1_S5_T2_lS5_lPKT0_lS6_lS5_l.private_seg_size, 0
	.set _ZN9rocsolver6v33100L22larf_left_kernel_smallILi128EfiPKPfEEvT1_S5_T2_lS5_lPKT0_lS6_lS5_l.uses_vcc, 1
	.set _ZN9rocsolver6v33100L22larf_left_kernel_smallILi128EfiPKPfEEvT1_S5_T2_lS5_lPKT0_lS6_lS5_l.uses_flat_scratch, 1
	.set _ZN9rocsolver6v33100L22larf_left_kernel_smallILi128EfiPKPfEEvT1_S5_T2_lS5_lPKT0_lS6_lS5_l.has_dyn_sized_stack, 0
	.set _ZN9rocsolver6v33100L22larf_left_kernel_smallILi128EfiPKPfEEvT1_S5_T2_lS5_lPKT0_lS6_lS5_l.has_recursion, 0
	.set _ZN9rocsolver6v33100L22larf_left_kernel_smallILi128EfiPKPfEEvT1_S5_T2_lS5_lPKT0_lS6_lS5_l.has_indirect_call, 0
	.section	.AMDGPU.csdata,"",@progbits
; Kernel info:
; codeLenInByte = 3224
; TotalNumSgprs: 39
; NumVgprs: 33
; ScratchSize: 0
; MemoryBound: 0
; FloatMode: 240
; IeeeMode: 1
; LDSByteSize: 8704 bytes/workgroup (compile time only)
; SGPRBlocks: 0
; VGPRBlocks: 2
; NumSGPRsForWavesPerEU: 39
; NumVGPRsForWavesPerEU: 33
; NamedBarCnt: 0
; Occupancy: 16
; WaveLimiterHint : 1
; COMPUTE_PGM_RSRC2:SCRATCH_EN: 0
; COMPUTE_PGM_RSRC2:USER_SGPR: 2
; COMPUTE_PGM_RSRC2:TRAP_HANDLER: 0
; COMPUTE_PGM_RSRC2:TGID_X_EN: 1
; COMPUTE_PGM_RSRC2:TGID_Y_EN: 1
; COMPUTE_PGM_RSRC2:TGID_Z_EN: 0
; COMPUTE_PGM_RSRC2:TIDIG_COMP_CNT: 0
	.section	.text._ZN9rocsolver6v33100L22larf_left_kernel_smallILi256EfiPKPfEEvT1_S5_T2_lS5_lPKT0_lS6_lS5_l,"axG",@progbits,_ZN9rocsolver6v33100L22larf_left_kernel_smallILi256EfiPKPfEEvT1_S5_T2_lS5_lPKT0_lS6_lS5_l,comdat
	.globl	_ZN9rocsolver6v33100L22larf_left_kernel_smallILi256EfiPKPfEEvT1_S5_T2_lS5_lPKT0_lS6_lS5_l ; -- Begin function _ZN9rocsolver6v33100L22larf_left_kernel_smallILi256EfiPKPfEEvT1_S5_T2_lS5_lPKT0_lS6_lS5_l
	.p2align	8
	.type	_ZN9rocsolver6v33100L22larf_left_kernel_smallILi256EfiPKPfEEvT1_S5_T2_lS5_lPKT0_lS6_lS5_l,@function
_ZN9rocsolver6v33100L22larf_left_kernel_smallILi256EfiPKPfEEvT1_S5_T2_lS5_lPKT0_lS6_lS5_l: ; @_ZN9rocsolver6v33100L22larf_left_kernel_smallILi256EfiPKPfEEvT1_S5_T2_lS5_lPKT0_lS6_lS5_l
; %bb.0:
	s_load_b256 s[4:11], s[0:1], 0x28
	s_bfe_u32 s2, ttmp6, 0x4000c
	s_and_b32 s3, ttmp6, 15
	s_add_co_i32 s2, s2, 1
	s_getreg_b32 s18, hwreg(HW_REG_IB_STS2, 6, 4)
	s_mul_i32 s2, ttmp9, s2
	s_load_b64 s[12:13], s[0:1], 0x0
	s_add_co_i32 s3, s3, s2
	s_cmp_eq_u32 s18, 0
	s_cselect_b32 s14, ttmp9, s3
	s_delay_alu instid0(SALU_CYCLE_1) | instskip(NEXT) | instid1(SALU_CYCLE_1)
	s_ashr_i32 s15, s14, 31
	s_lshl_b64 s[16:17], s[14:15], 3
	s_wait_kmcnt 0x0
	s_add_nc_u64 s[2:3], s[8:9], s[16:17]
	s_load_b64 s[8:9], s[2:3], 0x0
	s_wait_xcnt 0x0
	s_mov_b32 s3, 0
	v_cmp_gt_i32_e64 s2, s12, v0
	v_xad_u32 v4, v0, -1, s12
	s_and_saveexec_b32 s19, s2
	s_cbranch_execz .LBB12_17
; %bb.1:
	s_clause 0x1
	s_load_b128 s[24:27], s[0:1], 0x8
	s_load_b32 s20, s[0:1], 0x18
	s_sub_co_i32 s21, 1, s12
                                        ; implicit-def: $vgpr1
                                        ; implicit-def: $vgpr2
	s_wait_kmcnt 0x0
	s_add_nc_u64 s[16:17], s[24:25], s[16:17]
	s_lshl_b64 s[22:23], s[26:27], 2
	s_load_b64 s[16:17], s[16:17], 0x0
	s_mul_i32 s21, s20, s21
	s_cmp_lt_i32 s20, 1
	s_mov_b32 s24, -1
	s_cselect_b32 s21, s21, 0
	s_wait_kmcnt 0x0
	s_add_nc_u64 s[16:17], s[16:17], s[22:23]
	s_mov_b32 s22, exec_lo
	v_cmpx_lt_u32_e32 0x18ff, v4
	s_xor_b32 s22, exec_lo, s22
	s_cbranch_execnz .LBB12_4
; %bb.2:
	s_and_not1_saveexec_b32 s22, s22
	s_cbranch_execnz .LBB12_14
.LBB12_3:
	s_or_b32 exec_lo, exec_lo, s22
	s_delay_alu instid0(SALU_CYCLE_1)
	s_and_b32 exec_lo, exec_lo, s3
	s_cbranch_execnz .LBB12_15
	s_branch .LBB12_17
.LBB12_4:
	s_lshl_b32 s23, s20, 8
	v_mad_u32 v1, v0, s20, s21
	s_sub_co_i32 s3, 0, s23
	s_cmp_lt_i32 s23, 0
	v_lshrrev_b32_e32 v5, 8, v4
	s_cselect_b32 vcc_lo, -1, 0
	s_delay_alu instid0(SALU_CYCLE_1)
	s_and_b32 s25, vcc_lo, exec_lo
	s_cselect_b32 s25, s3, s23
	s_delay_alu instid0(VALU_DEP_1) | instid1(SALU_CYCLE_1)
	v_mul_lo_u32 v2, s25, v5
	s_delay_alu instid0(VALU_DEP_1) | instskip(NEXT) | instid1(VALU_DEP_1)
	v_sub_nc_u32_e32 v3, v1, v2
	v_cmp_gt_i32_e64 s3, v3, v1
	s_delay_alu instid0(VALU_DEP_1) | instskip(SKIP_1) | instid1(VALU_DEP_1)
	v_cndmask_b32_e64 v3, 0, 1, s3
	v_add_nc_u32_e32 v2, v1, v2
	v_cmp_lt_i32_e64 s3, v2, v1
	v_mul_hi_u32 v2, s25, v5
	s_delay_alu instid0(VALU_DEP_2) | instskip(NEXT) | instid1(VALU_DEP_1)
	v_cndmask_b32_e64 v1, 0, 1, s3
	v_cndmask_b32_e32 v1, v1, v3, vcc_lo
	s_delay_alu instid0(VALU_DEP_3) | instskip(NEXT) | instid1(VALU_DEP_2)
	v_cmp_eq_u32_e64 s3, 0, v2
	v_and_b32_e32 v1, 1, v1
	s_delay_alu instid0(VALU_DEP_1) | instskip(SKIP_2) | instid1(SALU_CYCLE_1)
	v_cmp_eq_u32_e32 vcc_lo, 1, v1
	v_mov_b32_e32 v1, v0
	s_xor_b32 s25, vcc_lo, -1
	s_and_b32 s25, s25, s3
	s_delay_alu instid0(SALU_CYCLE_1)
	s_and_saveexec_b32 s3, s25
	s_cbranch_execz .LBB12_13
; %bb.5:
	v_dual_mov_b32 v9, 0 :: v_dual_add_nc_u32 v2, -1, v5
	v_or_b32_e32 v1, 0x100, v0
	s_delay_alu instid0(VALU_DEP_2) | instskip(SKIP_1) | instid1(VALU_DEP_2)
	v_lshrrev_b32_e32 v3, 1, v2
	v_cmp_lt_u32_e32 vcc_lo, 5, v2
	v_add_nc_u32_e32 v6, 1, v3
	s_delay_alu instid0(VALU_DEP_4)
	v_mov_b64_e32 v[2:3], v[0:1]
	s_and_saveexec_b32 s24, vcc_lo
	s_cbranch_execz .LBB12_9
; %bb.6:
	v_mov_b64_e32 v[2:3], v[0:1]
	v_dual_lshlrev_b32 v8, 2, v0 :: v_dual_bitop2_b32 v7, -4, v6 bitop3:0x40
	s_mov_b32 s25, 0
	s_mov_b32 s26, 0
.LBB12_7:                               ; =>This Inner Loop Header: Depth=1
	s_delay_alu instid0(VALU_DEP_2) | instskip(NEXT) | instid1(VALU_DEP_3)
	v_mad_u32 v1, v2, s20, s21
	v_mad_u32 v9, v3, s20, s21
	s_add_co_i32 s26, s26, 8
	v_add_nc_u32_e32 v7, -4, v7
	s_clause 0x1
	flat_load_b32 v10, v1, s[16:17] scale_offset
	flat_load_b32 v11, v9, s[16:17] scale_offset
	s_wait_xcnt 0x1
	v_add_nc_u32_e32 v1, 0x200, v2
	s_wait_xcnt 0x0
	v_add_nc_u32_e32 v9, 0x200, v3
	s_delay_alu instid0(VALU_DEP_2) | instskip(NEXT) | instid1(VALU_DEP_2)
	v_mad_u32 v1, v1, s20, s21
	v_mad_u32 v9, v9, s20, s21
	s_wait_loadcnt_dscnt 0x0
	ds_store_2addr_stride64_b32 v8, v10, v11 offset1:4
	s_clause 0x1
	flat_load_b32 v10, v1, s[16:17] scale_offset
	flat_load_b32 v11, v9, s[16:17] scale_offset
	s_wait_xcnt 0x1
	v_add_nc_u32_e32 v1, 0x400, v2
	s_wait_xcnt 0x0
	v_add_nc_u32_e32 v9, 0x400, v3
	s_delay_alu instid0(VALU_DEP_2) | instskip(NEXT) | instid1(VALU_DEP_2)
	v_mad_u32 v1, v1, s20, s21
	v_mad_u32 v9, v9, s20, s21
	s_wait_loadcnt_dscnt 0x0
	ds_store_2addr_stride64_b32 v8, v10, v11 offset0:8 offset1:12
	s_clause 0x1
	flat_load_b32 v10, v1, s[16:17] scale_offset
	flat_load_b32 v11, v9, s[16:17] scale_offset
	s_wait_xcnt 0x1
	v_add_nc_u32_e32 v1, 0x600, v2
	s_wait_xcnt 0x0
	v_add_nc_u32_e32 v9, 0x600, v3
	v_add_nc_u32_e32 v3, 0x800, v3
	;; [unrolled: 1-line block ×3, first 2 shown]
	v_mad_u32 v1, v1, s20, s21
	s_delay_alu instid0(VALU_DEP_4)
	v_mad_u32 v9, v9, s20, s21
	s_wait_loadcnt_dscnt 0x0
	ds_store_2addr_stride64_b32 v8, v10, v11 offset0:16 offset1:20
	s_clause 0x1
	flat_load_b32 v10, v1, s[16:17] scale_offset
	flat_load_b32 v11, v9, s[16:17] scale_offset
	s_wait_xcnt 0x0
	v_mov_b32_e32 v9, s26
	v_cmp_eq_u32_e32 vcc_lo, 0, v7
	s_or_b32 s25, vcc_lo, s25
	s_wait_loadcnt_dscnt 0x0
	ds_store_2addr_stride64_b32 v8, v10, v11 offset0:24 offset1:28
	v_add_nc_u32_e32 v8, 0x2000, v8
	s_and_not1_b32 exec_lo, exec_lo, s25
	s_cbranch_execnz .LBB12_7
; %bb.8:
	s_or_b32 exec_lo, exec_lo, s25
.LBB12_9:
	s_delay_alu instid0(SALU_CYCLE_1) | instskip(SKIP_3) | instid1(VALU_DEP_1)
	s_or_b32 exec_lo, exec_lo, s24
	v_and_b32_e32 v1, 3, v6
	s_mov_b32 s25, 0
	s_mov_b32 s24, exec_lo
	v_cmpx_ne_u32_e32 0, v1
	s_cbranch_execz .LBB12_12
; %bb.10:
	v_lshlrev_b32_e32 v6, 2, v0
	s_delay_alu instid0(VALU_DEP_1)
	v_lshl_or_b32 v6, v9, 10, v6
.LBB12_11:                              ; =>This Inner Loop Header: Depth=1
	v_mad_u32 v7, v2, s20, s21
	v_mad_u32 v8, v3, s20, s21
	v_add_nc_u32_e32 v1, -1, v1
	v_add_nc_u32_e32 v3, 0x200, v3
	v_add_nc_u32_e32 v2, 0x200, v2
	s_clause 0x1
	flat_load_b32 v9, v7, s[16:17] scale_offset
	flat_load_b32 v10, v8, s[16:17] scale_offset
	v_cmp_eq_u32_e32 vcc_lo, 0, v1
	s_or_b32 s25, vcc_lo, s25
	s_wait_loadcnt_dscnt 0x0
	ds_store_2addr_stride64_b32 v6, v9, v10 offset1:4
	v_add_nc_u32_e32 v6, 0x800, v6
	s_and_not1_b32 exec_lo, exec_lo, s25
	s_cbranch_execnz .LBB12_11
.LBB12_12:
	s_or_b32 exec_lo, exec_lo, s24
	v_add_nc_u32_e32 v1, 1, v5
	s_delay_alu instid0(VALU_DEP_1) | instskip(NEXT) | instid1(VALU_DEP_1)
	v_and_b32_e32 v2, 0x1fffffe, v1
	v_cmp_ne_u32_e32 vcc_lo, v1, v2
	v_lshl_or_b32 v1, v2, 8, v0
	s_or_not1_b32 s24, vcc_lo, exec_lo
.LBB12_13:
	s_or_b32 exec_lo, exec_lo, s3
	v_mov_b32_e32 v2, s23
	s_and_b32 s3, s24, exec_lo
	s_and_not1_saveexec_b32 s22, s22
	s_cbranch_execz .LBB12_3
.LBB12_14:
	s_lshl_b32 s23, s20, 8
	s_or_b32 s3, s3, exec_lo
	v_dual_mov_b32 v2, s23 :: v_dual_mov_b32 v1, v0
	s_or_b32 exec_lo, exec_lo, s22
	s_delay_alu instid0(SALU_CYCLE_1)
	s_and_b32 exec_lo, exec_lo, s3
	s_cbranch_execz .LBB12_17
.LBB12_15:
	s_delay_alu instid0(VALU_DEP_1)
	v_mad_u32 v3, v1, s20, s21
	v_lshlrev_b32_e32 v5, 2, v1
	s_mov_b32 s3, 0
.LBB12_16:                              ; =>This Inner Loop Header: Depth=1
	flat_load_b32 v6, v3, s[16:17] scale_offset
	v_add_nc_u32_e32 v1, 0x100, v1
	s_wait_xcnt 0x0
	v_add_nc_u32_e32 v3, v3, v2
	s_delay_alu instid0(VALU_DEP_2)
	v_cmp_le_i32_e32 vcc_lo, s12, v1
	s_or_b32 s3, vcc_lo, s3
	s_wait_loadcnt_dscnt 0x0
	ds_store_b32 v5, v6
	v_add_nc_u32_e32 v5, 0x400, v5
	s_and_not1_b32 exec_lo, exec_lo, s3
	s_cbranch_execnz .LBB12_16
.LBB12_17:
	s_or_b32 exec_lo, exec_lo, s19
	s_bfe_u32 s3, ttmp6, 0x40010
	s_bfe_u32 s16, ttmp6, 0x40004
	s_add_co_i32 s3, s3, 1
	s_wait_dscnt 0x0
	s_mul_i32 s3, ttmp7, s3
	s_barrier_signal -1
	s_add_co_i32 s16, s16, s3
	s_cmp_eq_u32 s18, 0
	s_barrier_wait -1
	s_cselect_b32 s22, ttmp7, s16
	s_delay_alu instid0(SALU_CYCLE_1)
	s_cmp_ge_i32 s22, s13
	s_cbranch_scc1 .LBB12_55
; %bb.18:
	v_lshrrev_b32_e32 v1, 8, v4
	v_and_b32_e32 v2, 31, v0
	s_load_b32 s23, s[0:1], 0x48
	s_wait_xcnt 0x0
	s_lshl_b64 s[0:1], s[10:11], 2
	s_mul_u64 s[6:7], s[6:7], s[14:15]
	v_dual_add_nc_u32 v6, 1, v1 :: v_dual_lshrrev_b32 v14, 3, v0
	s_wait_kmcnt 0x0
	s_add_nc_u64 s[10:11], s[8:9], s[0:1]
	s_lshl_b64 s[0:1], s[6:7], 2
	v_mbcnt_lo_u32_b32 v18, -1, 0
	s_add_nc_u64 s[14:15], s[4:5], s[0:1]
	v_cmp_eq_u32_e64 s0, 0, v2
	v_dual_add_nc_u32 v5, -1, v1 :: v_dual_bitop2_b32 v2, 7, v6 bitop3:0x40
	v_and_b32_e32 v7, 0x1fffffe, v6
	v_mov_b32_e32 v3, 0
	v_cmp_lt_u32_e64 s4, 0x6ff, v4
	v_cmp_lt_u32_e64 s5, 0xff, v4
	v_lshrrev_b32_e32 v1, 1, v5
	v_cmp_lt_u32_e64 s6, 5, v5
	v_lshlrev_b32_e32 v4, 2, v0
	v_lshl_or_b32 v15, v7, 8, v0
	v_cmp_ne_u32_e64 s8, v6, v7
	v_add_nc_u32_e32 v8, 1, v1
	v_cmp_eq_u32_e64 s1, 0, v0
	v_mov_b32_e32 v5, v3
	v_cmp_ne_u32_e64 s3, 0, v2
	v_or_b32_e32 v1, 0x100, v0
	v_and_b32_e32 v16, 3, v8
	v_and_b32_e32 v17, -4, v8
	v_add_nc_u64_e32 v[6:7], s[10:11], v[4:5]
	v_lshlrev_b32_e32 v5, 2, v2
	v_lshl_or_b32 v19, v18, 2, 64
	v_cmp_ne_u32_e64 s7, 0, v16
	v_dual_mov_b32 v20, 0x2004 :: v_dual_lshlrev_b32 v23, 2, v15
	v_mov_b32_e32 v21, 0x200c
	v_mov_b32_e32 v22, 0x2014
	s_cmp_gt_i32 s12, 1
	s_mul_i32 s16, s22, s23
	s_cselect_b32 s9, -1, 0
	s_lshl_b32 s24, s23, 6
	s_add_nc_u64 s[18:19], s[10:11], 0x1c00
	s_branch .LBB12_20
.LBB12_19:                              ;   in Loop: Header=BB12_20 Depth=1
	s_or_b32 exec_lo, exec_lo, s17
	s_add_co_i32 s22, s22, 64
	s_add_co_i32 s16, s16, s24
	s_cmp_ge_i32 s22, s13
	s_cbranch_scc1 .LBB12_55
.LBB12_20:                              ; =>This Loop Header: Depth=1
                                        ;     Child Loop BB12_23 Depth 2
                                        ;     Child Loop BB12_27 Depth 2
	;; [unrolled: 1-line block ×5, first 2 shown]
	v_mov_b32_e32 v10, 0
	s_ashr_i32 s17, s16, 31
	s_delay_alu instid0(SALU_CYCLE_1)
	s_lshl_b64 s[20:21], s[16:17], 2
	s_and_saveexec_b32 s17, s2
	s_cbranch_execz .LBB12_30
; %bb.21:                               ;   in Loop: Header=BB12_20 Depth=1
	v_dual_mov_b32 v10, 0 :: v_dual_mov_b32 v2, v0
	s_and_saveexec_b32 s25, s3
	s_cbranch_execz .LBB12_25
; %bb.22:                               ;   in Loop: Header=BB12_20 Depth=1
	v_add_nc_u64_e32 v[8:9], s[20:21], v[6:7]
	v_dual_mov_b32 v10, 0 :: v_dual_mov_b32 v11, v5
	v_dual_mov_b32 v12, v4 :: v_dual_mov_b32 v2, v0
	s_mov_b32 s26, 0
.LBB12_23:                              ;   Parent Loop BB12_20 Depth=1
                                        ; =>  This Inner Loop Header: Depth=2
	flat_load_b32 v13, v[8:9]
	ds_load_b32 v24, v12
	v_add_nc_u32_e32 v11, -4, v11
	s_wait_xcnt 0x0
	v_add_nc_u64_e32 v[8:9], 0x400, v[8:9]
	v_add_nc_u32_e32 v2, 0x100, v2
	v_add_nc_u32_e32 v12, 0x400, v12
	s_wait_loadcnt_dscnt 0x0
	v_fmac_f32_e32 v10, v24, v13
	v_cmp_eq_u32_e32 vcc_lo, 0, v11
	s_or_b32 s26, vcc_lo, s26
	s_delay_alu instid0(SALU_CYCLE_1)
	s_and_not1_b32 exec_lo, exec_lo, s26
	s_cbranch_execnz .LBB12_23
; %bb.24:                               ;   in Loop: Header=BB12_20 Depth=1
	s_or_b32 exec_lo, exec_lo, s26
.LBB12_25:                              ;   in Loop: Header=BB12_20 Depth=1
	s_delay_alu instid0(SALU_CYCLE_1)
	s_or_b32 exec_lo, exec_lo, s25
	s_and_saveexec_b32 s25, s4
	s_cbranch_execz .LBB12_29
; %bb.26:                               ;   in Loop: Header=BB12_20 Depth=1
	s_add_nc_u64 s[26:27], s[18:19], s[20:21]
	v_lshlrev_b32_e32 v11, 2, v2
	v_lshl_add_u64 v[8:9], v[2:3], 2, s[26:27]
	s_mov_b32 s26, 0
.LBB12_27:                              ;   Parent Loop BB12_20 Depth=1
                                        ; =>  This Inner Loop Header: Depth=2
	s_clause 0x7
	flat_load_b32 v28, v[8:9] offset:-7168
	flat_load_b32 v29, v[8:9] offset:-6144
	;; [unrolled: 1-line block ×7, first 2 shown]
	flat_load_b32 v35, v[8:9]
	ds_load_2addr_stride64_b32 v[12:13], v11 offset1:4
	ds_load_2addr_stride64_b32 v[24:25], v11 offset0:8 offset1:12
	ds_load_2addr_stride64_b32 v[26:27], v11 offset0:16 offset1:20
	v_add_nc_u32_e32 v2, 0x800, v2
	s_wait_xcnt 0x0
	v_add_nc_u64_e32 v[8:9], 0x2000, v[8:9]
	s_delay_alu instid0(VALU_DEP_2) | instskip(SKIP_4) | instid1(VALU_DEP_1)
	v_cmp_le_i32_e32 vcc_lo, s12, v2
	s_or_b32 s26, vcc_lo, s26
	s_wait_loadcnt_dscnt 0x702
	v_fmac_f32_e32 v10, v12, v28
	s_wait_loadcnt 0x6
	v_fmac_f32_e32 v10, v13, v29
	ds_load_2addr_stride64_b32 v[12:13], v11 offset0:24 offset1:28
	s_wait_loadcnt_dscnt 0x502
	v_dual_fmac_f32 v10, v24, v30 :: v_dual_add_nc_u32 v11, 0x2000, v11
	s_wait_loadcnt 0x4
	s_delay_alu instid0(VALU_DEP_1) | instskip(SKIP_1) | instid1(VALU_DEP_1)
	v_fmac_f32_e32 v10, v25, v31
	s_wait_loadcnt_dscnt 0x301
	v_fmac_f32_e32 v10, v26, v32
	s_wait_loadcnt 0x2
	s_delay_alu instid0(VALU_DEP_1) | instskip(SKIP_1) | instid1(VALU_DEP_1)
	v_fmac_f32_e32 v10, v27, v33
	s_wait_loadcnt_dscnt 0x100
	v_fmac_f32_e32 v10, v12, v34
	s_wait_loadcnt 0x0
	s_delay_alu instid0(VALU_DEP_1)
	v_fmac_f32_e32 v10, v13, v35
	s_and_not1_b32 exec_lo, exec_lo, s26
	s_cbranch_execnz .LBB12_27
; %bb.28:                               ;   in Loop: Header=BB12_20 Depth=1
	s_or_b32 exec_lo, exec_lo, s26
.LBB12_29:                              ;   in Loop: Header=BB12_20 Depth=1
	s_delay_alu instid0(SALU_CYCLE_1)
	s_or_b32 exec_lo, exec_lo, s25
.LBB12_30:                              ;   in Loop: Header=BB12_20 Depth=1
	s_delay_alu instid0(SALU_CYCLE_1) | instskip(NEXT) | instid1(SALU_CYCLE_1)
	s_or_b32 exec_lo, exec_lo, s17
	s_and_b32 vcc_lo, exec_lo, s9
	s_cbranch_vccz .LBB12_37
; %bb.31:                               ;   in Loop: Header=BB12_20 Depth=1
	v_cmp_ne_u32_e32 vcc_lo, 31, v18
	v_add_co_ci_u32_e64 v2, null, 0, v18, vcc_lo
	v_cmp_gt_u32_e32 vcc_lo, 30, v18
	s_delay_alu instid0(VALU_DEP_2)
	v_lshlrev_b32_e32 v2, 2, v2
	v_cndmask_b32_e64 v8, 0, 2, vcc_lo
	v_cmp_gt_u32_e32 vcc_lo, 28, v18
	ds_bpermute_b32 v2, v2, v10
	v_add_lshl_u32 v8, v8, v18, 2
	v_cndmask_b32_e64 v9, 0, 4, vcc_lo
	v_cmp_gt_u32_e32 vcc_lo, 24, v18
	s_delay_alu instid0(VALU_DEP_2)
	v_add_lshl_u32 v9, v9, v18, 2
	s_wait_dscnt 0x0
	v_add_f32_e32 v2, v10, v2
	ds_bpermute_b32 v8, v8, v2
	s_wait_dscnt 0x0
	v_add_f32_e32 v2, v2, v8
	ds_bpermute_b32 v8, v9, v2
	v_cndmask_b32_e64 v9, 0, 8, vcc_lo
	s_wait_dscnt 0x0
	v_add_f32_e32 v2, v2, v8
	s_delay_alu instid0(VALU_DEP_2)
	v_add_lshl_u32 v8, v9, v18, 2
	ds_bpermute_b32 v8, v8, v2
	s_wait_dscnt 0x0
	v_add_f32_e32 v2, v2, v8
	ds_bpermute_b32 v8, v19, v2
	s_wait_dscnt 0x0
	v_add_f32_e32 v2, v2, v8
	s_and_saveexec_b32 s17, s0
; %bb.32:                               ;   in Loop: Header=BB12_20 Depth=1
	ds_store_b32 v14, v2 offset:8192
; %bb.33:                               ;   in Loop: Header=BB12_20 Depth=1
	s_or_b32 exec_lo, exec_lo, s17
	s_mov_b32 s25, 0
	s_mov_b32 s17, 0
	s_wait_dscnt 0x0
	s_barrier_signal -1
	s_barrier_wait -1
                                        ; implicit-def: $vgpr8
	s_and_saveexec_b32 s26, s1
	s_delay_alu instid0(SALU_CYCLE_1)
	s_xor_b32 s26, exec_lo, s26
	s_cbranch_execz .LBB12_35
; %bb.34:                               ;   in Loop: Header=BB12_20 Depth=1
	ds_load_2addr_b32 v[8:9], v20 offset1:1
	ds_load_2addr_b32 v[12:13], v21 offset1:1
	;; [unrolled: 1-line block ×3, first 2 shown]
	ds_load_b32 v11, v3 offset:8220
	s_mov_b32 s17, exec_lo
	s_wait_dscnt 0x3
	v_add_f32_e32 v2, v2, v8
	s_delay_alu instid0(VALU_DEP_1) | instskip(SKIP_1) | instid1(VALU_DEP_1)
	v_add_f32_e32 v2, v2, v9
	s_wait_dscnt 0x2
	v_add_f32_e32 v2, v2, v12
	s_delay_alu instid0(VALU_DEP_1) | instskip(SKIP_1) | instid1(VALU_DEP_1)
	v_add_f32_e32 v2, v2, v13
	s_wait_dscnt 0x1
	v_add_f32_e32 v2, v2, v24
	s_delay_alu instid0(VALU_DEP_1) | instskip(SKIP_1) | instid1(VALU_DEP_1)
	v_add_f32_e32 v2, v2, v25
	s_wait_dscnt 0x0
	v_add_f32_e32 v8, v2, v11
.LBB12_35:                              ;   in Loop: Header=BB12_20 Depth=1
	s_or_b32 exec_lo, exec_lo, s26
	s_delay_alu instid0(SALU_CYCLE_1)
	s_and_b32 vcc_lo, exec_lo, s25
	s_cbranch_vccnz .LBB12_38
.LBB12_36:                              ;   in Loop: Header=BB12_20 Depth=1
	s_delay_alu instid0(VALU_DEP_1)
	v_mov_b32_e32 v10, v8
	s_and_saveexec_b32 s25, s17
	s_cbranch_execnz .LBB12_39
	s_branch .LBB12_40
.LBB12_37:                              ;   in Loop: Header=BB12_20 Depth=1
	s_mov_b32 s17, 0
                                        ; implicit-def: $vgpr8
	s_cbranch_execz .LBB12_36
.LBB12_38:                              ;   in Loop: Header=BB12_20 Depth=1
	s_and_not1_b32 s17, s17, exec_lo
	s_and_b32 s25, s1, exec_lo
	s_delay_alu instid0(SALU_CYCLE_1) | instskip(NEXT) | instid1(SALU_CYCLE_1)
	s_or_b32 s17, s17, s25
	s_and_saveexec_b32 s25, s17
.LBB12_39:                              ;   in Loop: Header=BB12_20 Depth=1
	ds_store_b32 v3, v10 offset:8192
.LBB12_40:                              ;   in Loop: Header=BB12_20 Depth=1
	s_or_b32 exec_lo, exec_lo, s25
	s_wait_dscnt 0x0
	s_barrier_signal -1
	s_barrier_wait -1
	s_and_saveexec_b32 s17, s2
	s_cbranch_execz .LBB12_19
; %bb.41:                               ;   in Loop: Header=BB12_20 Depth=1
	global_load_b32 v2, v3, s[14:15]
	ds_load_b32 v8, v3 offset:8192
	v_mov_b32_e32 v10, v0
	s_mov_b32 s26, -1
	s_wait_loadcnt 0x0
	v_xor_b32_e32 v2, 0x80000000, v2
	s_wait_dscnt 0x0
	s_delay_alu instid0(VALU_DEP_1)
	v_mul_f32_e32 v8, v8, v2
	v_mov_b32_e32 v2, v4
	s_wait_xcnt 0x0
	s_and_saveexec_b32 s25, s5
	s_cbranch_execz .LBB12_52
; %bb.42:                               ;   in Loop: Header=BB12_20 Depth=1
	v_mov_b64_e32 v[10:11], v[0:1]
	v_dual_mov_b32 v9, v8 :: v_dual_mov_b32 v13, 0
	s_mul_i32 s26, s22, s23
	s_and_saveexec_b32 s27, s6
	s_cbranch_execz .LBB12_46
; %bb.43:                               ;   in Loop: Header=BB12_20 Depth=1
	v_mov_b64_e32 v[10:11], v[0:1]
	v_dual_mov_b32 v2, v17 :: v_dual_mov_b32 v12, v4
	s_add_co_i32 s28, s26, 0x200
	s_add_co_i32 s29, s26, 0x400
	;; [unrolled: 1-line block ×3, first 2 shown]
	s_mov_b32 s30, s28
	s_mov_b32 s31, s29
	;; [unrolled: 1-line block ×5, first 2 shown]
.LBB12_44:                              ;   Parent Loop BB12_20 Depth=1
                                        ; =>  This Inner Loop Header: Depth=2
	v_dual_add_nc_u32 v13, s26, v10 :: v_dual_add_nc_u32 v28, s26, v11
	v_dual_add_nc_u32 v29, s30, v11 :: v_dual_add_nc_u32 v30, s28, v10
	s_add_co_i32 s36, s36, 8
	s_clause 0x1
	flat_load_b32 v24, v13, s[10:11] scale_offset
	flat_load_b32 v25, v28, s[10:11] scale_offset
	ds_load_2addr_stride64_b32 v[26:27], v12 offset1:4
	v_add_nc_u32_e32 v2, -4, v2
	s_wait_loadcnt_dscnt 0x0
	v_pk_fma_f32 v[24:25], v[8:9], v[26:27], v[24:25]
	s_clause 0x3
	flat_store_b32 v13, v24, s[10:11] scale_offset
	flat_store_b32 v28, v25, s[10:11] scale_offset
	flat_load_b32 v24, v30, s[10:11] scale_offset
	flat_load_b32 v25, v29, s[10:11] scale_offset
	ds_load_2addr_stride64_b32 v[26:27], v12 offset0:8 offset1:12
	v_dual_add_nc_u32 v13, s31, v11 :: v_dual_add_nc_u32 v28, s29, v10
	s_wait_loadcnt_dscnt 0x0
	v_pk_fma_f32 v[24:25], v[8:9], v[26:27], v[24:25]
	s_clause 0x3
	flat_store_b32 v30, v24, s[10:11] scale_offset
	flat_store_b32 v29, v25, s[10:11] scale_offset
	flat_load_b32 v24, v28, s[10:11] scale_offset
	flat_load_b32 v25, v13, s[10:11] scale_offset
	ds_load_2addr_stride64_b32 v[26:27], v12 offset0:16 offset1:20
	v_dual_add_nc_u32 v29, s33, v10 :: v_dual_add_nc_u32 v30, s35, v11
	v_add_nc_u32_e32 v11, 0x800, v11
	v_add_nc_u32_e32 v10, 0x800, v10
	s_wait_loadcnt_dscnt 0x0
	v_pk_fma_f32 v[24:25], v[8:9], v[26:27], v[24:25]
	s_clause 0x3
	flat_store_b32 v28, v24, s[10:11] scale_offset
	flat_store_b32 v13, v25, s[10:11] scale_offset
	flat_load_b32 v24, v29, s[10:11] scale_offset
	flat_load_b32 v25, v30, s[10:11] scale_offset
	ds_load_2addr_stride64_b32 v[26:27], v12 offset0:24 offset1:28
	v_mov_b32_e32 v13, s36
	v_cmp_eq_u32_e32 vcc_lo, 0, v2
	v_add_nc_u32_e32 v12, 0x2000, v12
	s_or_b32 s34, vcc_lo, s34
	s_wait_loadcnt_dscnt 0x0
	v_pk_fma_f32 v[24:25], v[8:9], v[26:27], v[24:25]
	s_clause 0x1
	flat_store_b32 v29, v24, s[10:11] scale_offset
	flat_store_b32 v30, v25, s[10:11] scale_offset
	s_wait_xcnt 0x0
	s_and_not1_b32 exec_lo, exec_lo, s34
	s_cbranch_execnz .LBB12_44
; %bb.45:                               ;   in Loop: Header=BB12_20 Depth=1
	s_or_b32 exec_lo, exec_lo, s34
.LBB12_46:                              ;   in Loop: Header=BB12_20 Depth=1
	s_delay_alu instid0(SALU_CYCLE_1)
	s_or_b32 exec_lo, exec_lo, s27
	s_and_saveexec_b32 s27, s7
	s_cbranch_execz .LBB12_49
; %bb.47:                               ;   in Loop: Header=BB12_20 Depth=1
	v_lshl_or_b32 v2, v13, 10, v4
	v_mov_b32_e32 v12, v16
	s_mov_b32 s28, 0
.LBB12_48:                              ;   Parent Loop BB12_20 Depth=1
                                        ; =>  This Inner Loop Header: Depth=2
	v_dual_add_nc_u32 v13, s26, v10 :: v_dual_add_nc_u32 v28, s26, v11
	s_delay_alu instid0(VALU_DEP_2)
	v_add_nc_u32_e32 v12, -1, v12
	v_add_nc_u32_e32 v11, 0x200, v11
	v_add_nc_u32_e32 v10, 0x200, v10
	s_clause 0x1
	flat_load_b32 v24, v13, s[10:11] scale_offset
	flat_load_b32 v25, v28, s[10:11] scale_offset
	ds_load_2addr_stride64_b32 v[26:27], v2 offset1:4
	v_cmp_eq_u32_e32 vcc_lo, 0, v12
	v_add_nc_u32_e32 v2, 0x800, v2
	s_or_b32 s28, vcc_lo, s28
	s_wait_loadcnt_dscnt 0x0
	v_pk_fma_f32 v[24:25], v[8:9], v[26:27], v[24:25]
	s_clause 0x1
	flat_store_b32 v13, v24, s[10:11] scale_offset
	flat_store_b32 v28, v25, s[10:11] scale_offset
	s_wait_xcnt 0x0
	s_and_not1_b32 exec_lo, exec_lo, s28
	s_cbranch_execnz .LBB12_48
.LBB12_49:                              ;   in Loop: Header=BB12_20 Depth=1
	s_or_b32 exec_lo, exec_lo, s27
	s_mov_b32 s26, 0
	s_and_saveexec_b32 s27, s8
; %bb.50:                               ;   in Loop: Header=BB12_20 Depth=1
	s_mov_b32 s26, exec_lo
; %bb.51:                               ;   in Loop: Header=BB12_20 Depth=1
	s_or_b32 exec_lo, exec_lo, s27
	v_dual_mov_b32 v10, v15 :: v_dual_mov_b32 v2, v23
	s_or_not1_b32 s26, s26, exec_lo
.LBB12_52:                              ;   in Loop: Header=BB12_20 Depth=1
	s_or_b32 exec_lo, exec_lo, s25
	s_delay_alu instid0(SALU_CYCLE_1)
	s_and_b32 exec_lo, exec_lo, s26
	s_cbranch_execz .LBB12_19
; %bb.53:                               ;   in Loop: Header=BB12_20 Depth=1
	v_ashrrev_i32_e32 v11, 31, v10
	s_add_nc_u64 s[20:21], s[10:11], s[20:21]
	s_delay_alu instid0(VALU_DEP_1) | instid1(SALU_CYCLE_1)
	v_lshl_add_u64 v[12:13], v[10:11], 2, s[20:21]
	s_mov_b32 s20, 0
.LBB12_54:                              ;   Parent Loop BB12_20 Depth=1
                                        ; =>  This Inner Loop Header: Depth=2
	flat_load_b32 v9, v[12:13]
	ds_load_b32 v11, v2
	v_add_nc_u32_e32 v10, 0x100, v10
	s_wait_loadcnt_dscnt 0x0
	v_dual_fmac_f32 v9, v8, v11 :: v_dual_add_nc_u32 v2, 0x400, v2
	s_delay_alu instid0(VALU_DEP_2) | instskip(SKIP_4) | instid1(SALU_CYCLE_1)
	v_cmp_le_i32_e32 vcc_lo, s12, v10
	flat_store_b32 v[12:13], v9
	s_wait_xcnt 0x0
	v_add_nc_u64_e32 v[12:13], 0x400, v[12:13]
	s_or_b32 s20, vcc_lo, s20
	s_and_not1_b32 exec_lo, exec_lo, s20
	s_cbranch_execnz .LBB12_54
	s_branch .LBB12_19
.LBB12_55:
	s_endpgm
	.section	.rodata,"a",@progbits
	.p2align	6, 0x0
	.amdhsa_kernel _ZN9rocsolver6v33100L22larf_left_kernel_smallILi256EfiPKPfEEvT1_S5_T2_lS5_lPKT0_lS6_lS5_l
		.amdhsa_group_segment_fixed_size 9216
		.amdhsa_private_segment_fixed_size 0
		.amdhsa_kernarg_size 88
		.amdhsa_user_sgpr_count 2
		.amdhsa_user_sgpr_dispatch_ptr 0
		.amdhsa_user_sgpr_queue_ptr 0
		.amdhsa_user_sgpr_kernarg_segment_ptr 1
		.amdhsa_user_sgpr_dispatch_id 0
		.amdhsa_user_sgpr_kernarg_preload_length 0
		.amdhsa_user_sgpr_kernarg_preload_offset 0
		.amdhsa_user_sgpr_private_segment_size 0
		.amdhsa_wavefront_size32 1
		.amdhsa_uses_dynamic_stack 0
		.amdhsa_enable_private_segment 0
		.amdhsa_system_sgpr_workgroup_id_x 1
		.amdhsa_system_sgpr_workgroup_id_y 1
		.amdhsa_system_sgpr_workgroup_id_z 0
		.amdhsa_system_sgpr_workgroup_info 0
		.amdhsa_system_vgpr_workitem_id 0
		.amdhsa_next_free_vgpr 36
		.amdhsa_next_free_sgpr 37
		.amdhsa_named_barrier_count 0
		.amdhsa_reserve_vcc 1
		.amdhsa_float_round_mode_32 0
		.amdhsa_float_round_mode_16_64 0
		.amdhsa_float_denorm_mode_32 3
		.amdhsa_float_denorm_mode_16_64 3
		.amdhsa_fp16_overflow 0
		.amdhsa_memory_ordered 1
		.amdhsa_forward_progress 1
		.amdhsa_inst_pref_size 26
		.amdhsa_round_robin_scheduling 0
		.amdhsa_exception_fp_ieee_invalid_op 0
		.amdhsa_exception_fp_denorm_src 0
		.amdhsa_exception_fp_ieee_div_zero 0
		.amdhsa_exception_fp_ieee_overflow 0
		.amdhsa_exception_fp_ieee_underflow 0
		.amdhsa_exception_fp_ieee_inexact 0
		.amdhsa_exception_int_div_zero 0
	.end_amdhsa_kernel
	.section	.text._ZN9rocsolver6v33100L22larf_left_kernel_smallILi256EfiPKPfEEvT1_S5_T2_lS5_lPKT0_lS6_lS5_l,"axG",@progbits,_ZN9rocsolver6v33100L22larf_left_kernel_smallILi256EfiPKPfEEvT1_S5_T2_lS5_lPKT0_lS6_lS5_l,comdat
.Lfunc_end12:
	.size	_ZN9rocsolver6v33100L22larf_left_kernel_smallILi256EfiPKPfEEvT1_S5_T2_lS5_lPKT0_lS6_lS5_l, .Lfunc_end12-_ZN9rocsolver6v33100L22larf_left_kernel_smallILi256EfiPKPfEEvT1_S5_T2_lS5_lPKT0_lS6_lS5_l
                                        ; -- End function
	.set _ZN9rocsolver6v33100L22larf_left_kernel_smallILi256EfiPKPfEEvT1_S5_T2_lS5_lPKT0_lS6_lS5_l.num_vgpr, 36
	.set _ZN9rocsolver6v33100L22larf_left_kernel_smallILi256EfiPKPfEEvT1_S5_T2_lS5_lPKT0_lS6_lS5_l.num_agpr, 0
	.set _ZN9rocsolver6v33100L22larf_left_kernel_smallILi256EfiPKPfEEvT1_S5_T2_lS5_lPKT0_lS6_lS5_l.numbered_sgpr, 37
	.set _ZN9rocsolver6v33100L22larf_left_kernel_smallILi256EfiPKPfEEvT1_S5_T2_lS5_lPKT0_lS6_lS5_l.num_named_barrier, 0
	.set _ZN9rocsolver6v33100L22larf_left_kernel_smallILi256EfiPKPfEEvT1_S5_T2_lS5_lPKT0_lS6_lS5_l.private_seg_size, 0
	.set _ZN9rocsolver6v33100L22larf_left_kernel_smallILi256EfiPKPfEEvT1_S5_T2_lS5_lPKT0_lS6_lS5_l.uses_vcc, 1
	.set _ZN9rocsolver6v33100L22larf_left_kernel_smallILi256EfiPKPfEEvT1_S5_T2_lS5_lPKT0_lS6_lS5_l.uses_flat_scratch, 1
	.set _ZN9rocsolver6v33100L22larf_left_kernel_smallILi256EfiPKPfEEvT1_S5_T2_lS5_lPKT0_lS6_lS5_l.has_dyn_sized_stack, 0
	.set _ZN9rocsolver6v33100L22larf_left_kernel_smallILi256EfiPKPfEEvT1_S5_T2_lS5_lPKT0_lS6_lS5_l.has_recursion, 0
	.set _ZN9rocsolver6v33100L22larf_left_kernel_smallILi256EfiPKPfEEvT1_S5_T2_lS5_lPKT0_lS6_lS5_l.has_indirect_call, 0
	.section	.AMDGPU.csdata,"",@progbits
; Kernel info:
; codeLenInByte = 3296
; TotalNumSgprs: 39
; NumVgprs: 36
; ScratchSize: 0
; MemoryBound: 0
; FloatMode: 240
; IeeeMode: 1
; LDSByteSize: 9216 bytes/workgroup (compile time only)
; SGPRBlocks: 0
; VGPRBlocks: 2
; NumSGPRsForWavesPerEU: 39
; NumVGPRsForWavesPerEU: 36
; NamedBarCnt: 0
; Occupancy: 16
; WaveLimiterHint : 1
; COMPUTE_PGM_RSRC2:SCRATCH_EN: 0
; COMPUTE_PGM_RSRC2:USER_SGPR: 2
; COMPUTE_PGM_RSRC2:TRAP_HANDLER: 0
; COMPUTE_PGM_RSRC2:TGID_X_EN: 1
; COMPUTE_PGM_RSRC2:TGID_Y_EN: 1
; COMPUTE_PGM_RSRC2:TGID_Z_EN: 0
; COMPUTE_PGM_RSRC2:TIDIG_COMP_CNT: 0
	.section	.text._ZN9rocsolver6v33100L22larf_left_kernel_smallILi512EfiPKPfEEvT1_S5_T2_lS5_lPKT0_lS6_lS5_l,"axG",@progbits,_ZN9rocsolver6v33100L22larf_left_kernel_smallILi512EfiPKPfEEvT1_S5_T2_lS5_lPKT0_lS6_lS5_l,comdat
	.globl	_ZN9rocsolver6v33100L22larf_left_kernel_smallILi512EfiPKPfEEvT1_S5_T2_lS5_lPKT0_lS6_lS5_l ; -- Begin function _ZN9rocsolver6v33100L22larf_left_kernel_smallILi512EfiPKPfEEvT1_S5_T2_lS5_lPKT0_lS6_lS5_l
	.p2align	8
	.type	_ZN9rocsolver6v33100L22larf_left_kernel_smallILi512EfiPKPfEEvT1_S5_T2_lS5_lPKT0_lS6_lS5_l,@function
_ZN9rocsolver6v33100L22larf_left_kernel_smallILi512EfiPKPfEEvT1_S5_T2_lS5_lPKT0_lS6_lS5_l: ; @_ZN9rocsolver6v33100L22larf_left_kernel_smallILi512EfiPKPfEEvT1_S5_T2_lS5_lPKT0_lS6_lS5_l
; %bb.0:
	s_load_b256 s[4:11], s[0:1], 0x28
	s_bfe_u32 s2, ttmp6, 0x4000c
	s_and_b32 s3, ttmp6, 15
	s_add_co_i32 s2, s2, 1
	s_getreg_b32 s18, hwreg(HW_REG_IB_STS2, 6, 4)
	s_mul_i32 s2, ttmp9, s2
	s_load_b64 s[12:13], s[0:1], 0x0
	s_add_co_i32 s3, s3, s2
	s_cmp_eq_u32 s18, 0
	s_cselect_b32 s14, ttmp9, s3
	s_delay_alu instid0(SALU_CYCLE_1) | instskip(NEXT) | instid1(SALU_CYCLE_1)
	s_ashr_i32 s15, s14, 31
	s_lshl_b64 s[16:17], s[14:15], 3
	s_wait_kmcnt 0x0
	s_add_nc_u64 s[2:3], s[8:9], s[16:17]
	s_load_b64 s[8:9], s[2:3], 0x0
	s_wait_xcnt 0x0
	s_mov_b32 s3, 0
	v_cmp_gt_i32_e64 s2, s12, v0
	v_xad_u32 v4, v0, -1, s12
	s_and_saveexec_b32 s19, s2
	s_cbranch_execz .LBB13_17
; %bb.1:
	s_clause 0x1
	s_load_b128 s[24:27], s[0:1], 0x8
	s_load_b32 s20, s[0:1], 0x18
	s_sub_co_i32 s21, 1, s12
                                        ; implicit-def: $vgpr1
                                        ; implicit-def: $vgpr2
	s_wait_kmcnt 0x0
	s_add_nc_u64 s[16:17], s[24:25], s[16:17]
	s_lshl_b64 s[22:23], s[26:27], 2
	s_load_b64 s[16:17], s[16:17], 0x0
	s_mul_i32 s21, s20, s21
	s_cmp_lt_i32 s20, 1
	s_mov_b32 s24, -1
	s_cselect_b32 s21, s21, 0
	s_wait_kmcnt 0x0
	s_add_nc_u64 s[16:17], s[16:17], s[22:23]
	s_mov_b32 s22, exec_lo
	v_cmpx_lt_u32_e32 0x31ff, v4
	s_xor_b32 s22, exec_lo, s22
	s_cbranch_execnz .LBB13_4
; %bb.2:
	s_and_not1_saveexec_b32 s22, s22
	s_cbranch_execnz .LBB13_14
.LBB13_3:
	s_or_b32 exec_lo, exec_lo, s22
	s_delay_alu instid0(SALU_CYCLE_1)
	s_and_b32 exec_lo, exec_lo, s3
	s_cbranch_execnz .LBB13_15
	s_branch .LBB13_17
.LBB13_4:
	s_lshl_b32 s23, s20, 9
	v_mad_u32 v1, v0, s20, s21
	s_sub_co_i32 s3, 0, s23
	s_cmp_lt_i32 s23, 0
	v_lshrrev_b32_e32 v5, 9, v4
	s_cselect_b32 vcc_lo, -1, 0
	s_delay_alu instid0(SALU_CYCLE_1)
	s_and_b32 s25, vcc_lo, exec_lo
	s_cselect_b32 s25, s3, s23
	s_delay_alu instid0(VALU_DEP_1) | instid1(SALU_CYCLE_1)
	v_mul_lo_u32 v2, s25, v5
	s_delay_alu instid0(VALU_DEP_1) | instskip(NEXT) | instid1(VALU_DEP_1)
	v_sub_nc_u32_e32 v3, v1, v2
	v_cmp_gt_i32_e64 s3, v3, v1
	s_delay_alu instid0(VALU_DEP_1) | instskip(SKIP_1) | instid1(VALU_DEP_1)
	v_cndmask_b32_e64 v3, 0, 1, s3
	v_add_nc_u32_e32 v2, v1, v2
	v_cmp_lt_i32_e64 s3, v2, v1
	v_mul_hi_u32 v2, s25, v5
	s_delay_alu instid0(VALU_DEP_2) | instskip(NEXT) | instid1(VALU_DEP_1)
	v_cndmask_b32_e64 v1, 0, 1, s3
	v_cndmask_b32_e32 v1, v1, v3, vcc_lo
	s_delay_alu instid0(VALU_DEP_3) | instskip(NEXT) | instid1(VALU_DEP_2)
	v_cmp_eq_u32_e64 s3, 0, v2
	v_and_b32_e32 v1, 1, v1
	s_delay_alu instid0(VALU_DEP_1) | instskip(SKIP_2) | instid1(SALU_CYCLE_1)
	v_cmp_eq_u32_e32 vcc_lo, 1, v1
	v_mov_b32_e32 v1, v0
	s_xor_b32 s25, vcc_lo, -1
	s_and_b32 s25, s25, s3
	s_delay_alu instid0(SALU_CYCLE_1)
	s_and_saveexec_b32 s3, s25
	s_cbranch_execz .LBB13_13
; %bb.5:
	v_dual_mov_b32 v9, 0 :: v_dual_add_nc_u32 v2, -1, v5
	v_or_b32_e32 v1, 0x200, v0
	s_delay_alu instid0(VALU_DEP_2) | instskip(SKIP_1) | instid1(VALU_DEP_2)
	v_lshrrev_b32_e32 v3, 1, v2
	v_cmp_lt_u32_e32 vcc_lo, 5, v2
	v_add_nc_u32_e32 v6, 1, v3
	s_delay_alu instid0(VALU_DEP_4)
	v_mov_b64_e32 v[2:3], v[0:1]
	s_and_saveexec_b32 s24, vcc_lo
	s_cbranch_execz .LBB13_9
; %bb.6:
	v_mov_b64_e32 v[2:3], v[0:1]
	v_dual_lshlrev_b32 v8, 2, v0 :: v_dual_bitop2_b32 v7, -4, v6 bitop3:0x40
	s_mov_b32 s25, 0
	s_mov_b32 s26, 0
.LBB13_7:                               ; =>This Inner Loop Header: Depth=1
	s_delay_alu instid0(VALU_DEP_2) | instskip(NEXT) | instid1(VALU_DEP_3)
	v_mad_u32 v1, v2, s20, s21
	v_mad_u32 v9, v3, s20, s21
	s_add_co_i32 s26, s26, 8
	v_add_nc_u32_e32 v7, -4, v7
	s_clause 0x1
	flat_load_b32 v10, v1, s[16:17] scale_offset
	flat_load_b32 v11, v9, s[16:17] scale_offset
	s_wait_xcnt 0x1
	v_add_nc_u32_e32 v1, 0x400, v2
	s_wait_xcnt 0x0
	v_add_nc_u32_e32 v9, 0x400, v3
	s_delay_alu instid0(VALU_DEP_2) | instskip(NEXT) | instid1(VALU_DEP_2)
	v_mad_u32 v1, v1, s20, s21
	v_mad_u32 v9, v9, s20, s21
	s_wait_loadcnt_dscnt 0x0
	ds_store_2addr_stride64_b32 v8, v10, v11 offset1:8
	s_clause 0x1
	flat_load_b32 v10, v1, s[16:17] scale_offset
	flat_load_b32 v11, v9, s[16:17] scale_offset
	s_wait_xcnt 0x1
	v_add_nc_u32_e32 v1, 0x800, v2
	s_wait_xcnt 0x0
	v_add_nc_u32_e32 v9, 0x800, v3
	s_delay_alu instid0(VALU_DEP_2) | instskip(NEXT) | instid1(VALU_DEP_2)
	v_mad_u32 v1, v1, s20, s21
	v_mad_u32 v9, v9, s20, s21
	s_wait_loadcnt_dscnt 0x0
	ds_store_2addr_stride64_b32 v8, v10, v11 offset0:16 offset1:24
	s_clause 0x1
	flat_load_b32 v10, v1, s[16:17] scale_offset
	flat_load_b32 v11, v9, s[16:17] scale_offset
	s_wait_xcnt 0x1
	v_add_nc_u32_e32 v1, 0xc00, v2
	s_wait_xcnt 0x0
	v_add_nc_u32_e32 v9, 0xc00, v3
	v_add_nc_u32_e32 v3, 0x1000, v3
	;; [unrolled: 1-line block ×3, first 2 shown]
	v_mad_u32 v1, v1, s20, s21
	s_delay_alu instid0(VALU_DEP_4)
	v_mad_u32 v9, v9, s20, s21
	s_wait_loadcnt_dscnt 0x0
	ds_store_2addr_stride64_b32 v8, v10, v11 offset0:32 offset1:40
	s_clause 0x1
	flat_load_b32 v10, v1, s[16:17] scale_offset
	flat_load_b32 v11, v9, s[16:17] scale_offset
	s_wait_xcnt 0x0
	v_mov_b32_e32 v9, s26
	v_cmp_eq_u32_e32 vcc_lo, 0, v7
	s_or_b32 s25, vcc_lo, s25
	s_wait_loadcnt_dscnt 0x0
	ds_store_2addr_stride64_b32 v8, v10, v11 offset0:48 offset1:56
	v_add_nc_u32_e32 v8, 0x4000, v8
	s_and_not1_b32 exec_lo, exec_lo, s25
	s_cbranch_execnz .LBB13_7
; %bb.8:
	s_or_b32 exec_lo, exec_lo, s25
.LBB13_9:
	s_delay_alu instid0(SALU_CYCLE_1) | instskip(SKIP_3) | instid1(VALU_DEP_1)
	s_or_b32 exec_lo, exec_lo, s24
	v_and_b32_e32 v1, 3, v6
	s_mov_b32 s25, 0
	s_mov_b32 s24, exec_lo
	v_cmpx_ne_u32_e32 0, v1
	s_cbranch_execz .LBB13_12
; %bb.10:
	v_lshlrev_b32_e32 v6, 2, v0
	s_delay_alu instid0(VALU_DEP_1)
	v_lshl_or_b32 v6, v9, 11, v6
.LBB13_11:                              ; =>This Inner Loop Header: Depth=1
	v_mad_u32 v7, v2, s20, s21
	v_mad_u32 v8, v3, s20, s21
	v_add_nc_u32_e32 v1, -1, v1
	v_add_nc_u32_e32 v3, 0x400, v3
	v_add_nc_u32_e32 v2, 0x400, v2
	s_clause 0x1
	flat_load_b32 v9, v7, s[16:17] scale_offset
	flat_load_b32 v10, v8, s[16:17] scale_offset
	v_cmp_eq_u32_e32 vcc_lo, 0, v1
	s_or_b32 s25, vcc_lo, s25
	s_wait_loadcnt_dscnt 0x0
	ds_store_2addr_stride64_b32 v6, v9, v10 offset1:8
	v_add_nc_u32_e32 v6, 0x1000, v6
	s_and_not1_b32 exec_lo, exec_lo, s25
	s_cbranch_execnz .LBB13_11
.LBB13_12:
	s_or_b32 exec_lo, exec_lo, s24
	v_add_nc_u32_e32 v1, 1, v5
	s_delay_alu instid0(VALU_DEP_1) | instskip(NEXT) | instid1(VALU_DEP_1)
	v_and_b32_e32 v2, 0xfffffe, v1
	v_cmp_ne_u32_e32 vcc_lo, v1, v2
	v_lshl_or_b32 v1, v2, 9, v0
	s_or_not1_b32 s24, vcc_lo, exec_lo
.LBB13_13:
	s_or_b32 exec_lo, exec_lo, s3
	v_mov_b32_e32 v2, s23
	s_and_b32 s3, s24, exec_lo
	s_and_not1_saveexec_b32 s22, s22
	s_cbranch_execz .LBB13_3
.LBB13_14:
	s_lshl_b32 s23, s20, 9
	s_or_b32 s3, s3, exec_lo
	v_dual_mov_b32 v2, s23 :: v_dual_mov_b32 v1, v0
	s_or_b32 exec_lo, exec_lo, s22
	s_delay_alu instid0(SALU_CYCLE_1)
	s_and_b32 exec_lo, exec_lo, s3
	s_cbranch_execz .LBB13_17
.LBB13_15:
	s_delay_alu instid0(VALU_DEP_1)
	v_mad_u32 v3, v1, s20, s21
	v_lshlrev_b32_e32 v5, 2, v1
	s_mov_b32 s3, 0
.LBB13_16:                              ; =>This Inner Loop Header: Depth=1
	flat_load_b32 v6, v3, s[16:17] scale_offset
	v_add_nc_u32_e32 v1, 0x200, v1
	s_wait_xcnt 0x0
	v_add_nc_u32_e32 v3, v3, v2
	s_delay_alu instid0(VALU_DEP_2)
	v_cmp_le_i32_e32 vcc_lo, s12, v1
	s_or_b32 s3, vcc_lo, s3
	s_wait_loadcnt_dscnt 0x0
	ds_store_b32 v5, v6
	v_add_nc_u32_e32 v5, 0x800, v5
	s_and_not1_b32 exec_lo, exec_lo, s3
	s_cbranch_execnz .LBB13_16
.LBB13_17:
	s_or_b32 exec_lo, exec_lo, s19
	s_bfe_u32 s3, ttmp6, 0x40010
	s_bfe_u32 s16, ttmp6, 0x40004
	s_add_co_i32 s3, s3, 1
	s_wait_dscnt 0x0
	s_mul_i32 s3, ttmp7, s3
	s_barrier_signal -1
	s_add_co_i32 s16, s16, s3
	s_cmp_eq_u32 s18, 0
	s_barrier_wait -1
	s_cselect_b32 s22, ttmp7, s16
	s_delay_alu instid0(SALU_CYCLE_1)
	s_cmp_ge_i32 s22, s13
	s_cbranch_scc1 .LBB13_55
; %bb.18:
	v_lshrrev_b32_e32 v1, 9, v4
	v_and_b32_e32 v2, 31, v0
	s_load_b32 s23, s[0:1], 0x48
	s_wait_xcnt 0x0
	s_lshl_b64 s[0:1], s[10:11], 2
	s_mul_u64 s[6:7], s[6:7], s[14:15]
	v_dual_add_nc_u32 v6, 1, v1 :: v_dual_lshrrev_b32 v14, 3, v0
	s_wait_kmcnt 0x0
	s_add_nc_u64 s[10:11], s[8:9], s[0:1]
	s_lshl_b64 s[0:1], s[6:7], 2
	v_mbcnt_lo_u32_b32 v18, -1, 0
	s_add_nc_u64 s[14:15], s[4:5], s[0:1]
	v_cmp_eq_u32_e64 s0, 0, v2
	v_dual_add_nc_u32 v5, -1, v1 :: v_dual_bitop2_b32 v2, 7, v6 bitop3:0x40
	v_and_b32_e32 v7, 0xfffffe, v6
	v_mov_b32_e32 v3, 0
	v_cmp_lt_u32_e64 s4, 0xdff, v4
	v_cmp_lt_u32_e64 s5, 0x1ff, v4
	v_lshrrev_b32_e32 v1, 1, v5
	v_cmp_lt_u32_e64 s6, 5, v5
	v_lshlrev_b32_e32 v4, 2, v0
	v_lshl_or_b32 v15, v7, 9, v0
	v_cmp_ne_u32_e64 s8, v6, v7
	v_add_nc_u32_e32 v8, 1, v1
	v_cmp_eq_u32_e64 s1, 0, v0
	v_mov_b32_e32 v5, v3
	v_cmp_ne_u32_e64 s3, 0, v2
	v_or_b32_e32 v1, 0x200, v0
	v_and_b32_e32 v16, 3, v8
	v_and_b32_e32 v17, -4, v8
	v_add_nc_u64_e32 v[6:7], s[10:11], v[4:5]
	v_lshlrev_b32_e32 v5, 2, v2
	v_lshl_or_b32 v19, v18, 2, 64
	v_cmp_ne_u32_e64 s7, 0, v16
	v_mov_b32_e32 v20, 0x2004
	v_mov_b32_e32 v21, 0x200c
	;; [unrolled: 1-line block ×7, first 2 shown]
	s_cmp_gt_i32 s12, 1
	s_mul_i32 s16, s22, s23
	s_cselect_b32 s9, -1, 0
	s_lshl_b32 s24, s23, 6
	s_add_nc_u64 s[18:19], s[10:11], 0x3800
	s_branch .LBB13_20
.LBB13_19:                              ;   in Loop: Header=BB13_20 Depth=1
	s_or_b32 exec_lo, exec_lo, s17
	s_add_co_i32 s22, s22, 64
	s_add_co_i32 s16, s16, s24
	s_cmp_ge_i32 s22, s13
	s_cbranch_scc1 .LBB13_55
.LBB13_20:                              ; =>This Loop Header: Depth=1
                                        ;     Child Loop BB13_23 Depth 2
                                        ;     Child Loop BB13_27 Depth 2
	;; [unrolled: 1-line block ×5, first 2 shown]
	v_mov_b32_e32 v10, 0
	s_ashr_i32 s17, s16, 31
	s_delay_alu instid0(SALU_CYCLE_1)
	s_lshl_b64 s[20:21], s[16:17], 2
	s_and_saveexec_b32 s17, s2
	s_cbranch_execz .LBB13_30
; %bb.21:                               ;   in Loop: Header=BB13_20 Depth=1
	v_dual_mov_b32 v10, 0 :: v_dual_mov_b32 v2, v0
	s_and_saveexec_b32 s25, s3
	s_cbranch_execz .LBB13_25
; %bb.22:                               ;   in Loop: Header=BB13_20 Depth=1
	v_add_nc_u64_e32 v[8:9], s[20:21], v[6:7]
	v_dual_mov_b32 v10, 0 :: v_dual_mov_b32 v11, v5
	v_dual_mov_b32 v12, v4 :: v_dual_mov_b32 v2, v0
	s_mov_b32 s26, 0
.LBB13_23:                              ;   Parent Loop BB13_20 Depth=1
                                        ; =>  This Inner Loop Header: Depth=2
	flat_load_b32 v13, v[8:9]
	ds_load_b32 v27, v12
	v_add_nc_u32_e32 v11, -4, v11
	s_wait_xcnt 0x0
	v_add_nc_u64_e32 v[8:9], 0x800, v[8:9]
	v_add_nc_u32_e32 v2, 0x200, v2
	v_add_nc_u32_e32 v12, 0x800, v12
	s_wait_loadcnt_dscnt 0x0
	v_fmac_f32_e32 v10, v27, v13
	v_cmp_eq_u32_e32 vcc_lo, 0, v11
	s_or_b32 s26, vcc_lo, s26
	s_delay_alu instid0(SALU_CYCLE_1)
	s_and_not1_b32 exec_lo, exec_lo, s26
	s_cbranch_execnz .LBB13_23
; %bb.24:                               ;   in Loop: Header=BB13_20 Depth=1
	s_or_b32 exec_lo, exec_lo, s26
.LBB13_25:                              ;   in Loop: Header=BB13_20 Depth=1
	s_delay_alu instid0(SALU_CYCLE_1)
	s_or_b32 exec_lo, exec_lo, s25
	s_and_saveexec_b32 s25, s4
	s_cbranch_execz .LBB13_29
; %bb.26:                               ;   in Loop: Header=BB13_20 Depth=1
	s_add_nc_u64 s[26:27], s[18:19], s[20:21]
	v_lshlrev_b32_e32 v11, 2, v2
	v_lshl_add_u64 v[8:9], v[2:3], 2, s[26:27]
	s_mov_b32 s26, 0
.LBB13_27:                              ;   Parent Loop BB13_20 Depth=1
                                        ; =>  This Inner Loop Header: Depth=2
	s_clause 0x7
	flat_load_b32 v27, v[8:9] offset:-14336
	flat_load_b32 v32, v[8:9] offset:-12288
	;; [unrolled: 1-line block ×7, first 2 shown]
	flat_load_b32 v38, v[8:9]
	ds_load_2addr_stride64_b32 v[12:13], v11 offset1:8
	ds_load_2addr_stride64_b32 v[28:29], v11 offset0:16 offset1:24
	ds_load_2addr_stride64_b32 v[30:31], v11 offset0:32 offset1:40
	v_add_nc_u32_e32 v2, 0x1000, v2
	s_wait_xcnt 0x0
	v_add_nc_u64_e32 v[8:9], 0x4000, v[8:9]
	s_delay_alu instid0(VALU_DEP_2) | instskip(SKIP_4) | instid1(VALU_DEP_1)
	v_cmp_le_i32_e32 vcc_lo, s12, v2
	s_or_b32 s26, vcc_lo, s26
	s_wait_loadcnt_dscnt 0x702
	v_fmac_f32_e32 v10, v12, v27
	s_wait_loadcnt 0x6
	v_fmac_f32_e32 v10, v13, v32
	ds_load_2addr_stride64_b32 v[12:13], v11 offset0:48 offset1:56
	s_wait_loadcnt_dscnt 0x502
	v_dual_fmac_f32 v10, v28, v33 :: v_dual_add_nc_u32 v11, 0x4000, v11
	s_wait_loadcnt 0x4
	s_delay_alu instid0(VALU_DEP_1) | instskip(SKIP_1) | instid1(VALU_DEP_1)
	v_fmac_f32_e32 v10, v29, v34
	s_wait_loadcnt_dscnt 0x301
	v_fmac_f32_e32 v10, v30, v35
	s_wait_loadcnt 0x2
	s_delay_alu instid0(VALU_DEP_1) | instskip(SKIP_1) | instid1(VALU_DEP_1)
	v_fmac_f32_e32 v10, v31, v36
	s_wait_loadcnt_dscnt 0x100
	v_fmac_f32_e32 v10, v12, v37
	s_wait_loadcnt 0x0
	s_delay_alu instid0(VALU_DEP_1)
	v_fmac_f32_e32 v10, v13, v38
	s_and_not1_b32 exec_lo, exec_lo, s26
	s_cbranch_execnz .LBB13_27
; %bb.28:                               ;   in Loop: Header=BB13_20 Depth=1
	s_or_b32 exec_lo, exec_lo, s26
.LBB13_29:                              ;   in Loop: Header=BB13_20 Depth=1
	s_delay_alu instid0(SALU_CYCLE_1)
	s_or_b32 exec_lo, exec_lo, s25
.LBB13_30:                              ;   in Loop: Header=BB13_20 Depth=1
	s_delay_alu instid0(SALU_CYCLE_1) | instskip(NEXT) | instid1(SALU_CYCLE_1)
	s_or_b32 exec_lo, exec_lo, s17
	s_and_b32 vcc_lo, exec_lo, s9
	s_cbranch_vccz .LBB13_37
; %bb.31:                               ;   in Loop: Header=BB13_20 Depth=1
	v_cmp_ne_u32_e32 vcc_lo, 31, v18
	v_add_co_ci_u32_e64 v2, null, 0, v18, vcc_lo
	v_cmp_gt_u32_e32 vcc_lo, 30, v18
	s_delay_alu instid0(VALU_DEP_2)
	v_lshlrev_b32_e32 v2, 2, v2
	v_cndmask_b32_e64 v8, 0, 2, vcc_lo
	v_cmp_gt_u32_e32 vcc_lo, 28, v18
	ds_bpermute_b32 v2, v2, v10
	v_add_lshl_u32 v8, v8, v18, 2
	v_cndmask_b32_e64 v9, 0, 4, vcc_lo
	v_cmp_gt_u32_e32 vcc_lo, 24, v18
	s_delay_alu instid0(VALU_DEP_2)
	v_add_lshl_u32 v9, v9, v18, 2
	s_wait_dscnt 0x0
	v_add_f32_e32 v2, v10, v2
	ds_bpermute_b32 v8, v8, v2
	s_wait_dscnt 0x0
	v_add_f32_e32 v2, v2, v8
	ds_bpermute_b32 v8, v9, v2
	v_cndmask_b32_e64 v9, 0, 8, vcc_lo
	s_wait_dscnt 0x0
	v_add_f32_e32 v2, v2, v8
	s_delay_alu instid0(VALU_DEP_2)
	v_add_lshl_u32 v8, v9, v18, 2
	ds_bpermute_b32 v8, v8, v2
	s_wait_dscnt 0x0
	v_add_f32_e32 v2, v2, v8
	ds_bpermute_b32 v8, v19, v2
	s_wait_dscnt 0x0
	v_add_f32_e32 v2, v2, v8
	s_and_saveexec_b32 s17, s0
; %bb.32:                               ;   in Loop: Header=BB13_20 Depth=1
	ds_store_b32 v14, v2 offset:8192
; %bb.33:                               ;   in Loop: Header=BB13_20 Depth=1
	s_or_b32 exec_lo, exec_lo, s17
	s_mov_b32 s25, 0
	s_mov_b32 s17, 0
	s_wait_dscnt 0x0
	s_barrier_signal -1
	s_barrier_wait -1
                                        ; implicit-def: $vgpr8
	s_and_saveexec_b32 s26, s1
	s_delay_alu instid0(SALU_CYCLE_1)
	s_xor_b32 s26, exec_lo, s26
	s_cbranch_execz .LBB13_35
; %bb.34:                               ;   in Loop: Header=BB13_20 Depth=1
	ds_load_2addr_b32 v[8:9], v20 offset1:1
	ds_load_2addr_b32 v[12:13], v21 offset1:1
	;; [unrolled: 1-line block ×4, first 2 shown]
	s_mov_b32 s17, exec_lo
	s_wait_dscnt 0x3
	v_add_f32_e32 v2, v2, v8
	s_delay_alu instid0(VALU_DEP_1) | instskip(SKIP_3) | instid1(VALU_DEP_1)
	v_add_f32_e32 v2, v2, v9
	ds_load_2addr_b32 v[8:9], v24 offset1:1
	s_wait_dscnt 0x3
	v_add_f32_e32 v2, v2, v12
	v_add_f32_e32 v2, v2, v13
	ds_load_2addr_b32 v[12:13], v25 offset1:1
	s_wait_dscnt 0x3
	v_add_f32_e32 v2, v2, v28
	s_delay_alu instid0(VALU_DEP_1) | instskip(SKIP_4) | instid1(VALU_DEP_1)
	v_add_f32_e32 v2, v2, v29
	ds_load_2addr_b32 v[28:29], v26 offset1:1
	ds_load_b32 v11, v3 offset:8252
	s_wait_dscnt 0x4
	v_add_f32_e32 v2, v2, v30
	v_add_f32_e32 v2, v2, v31
	s_wait_dscnt 0x3
	s_delay_alu instid0(VALU_DEP_1) | instskip(NEXT) | instid1(VALU_DEP_1)
	v_add_f32_e32 v2, v2, v8
	v_add_f32_e32 v2, v2, v9
	s_wait_dscnt 0x2
	s_delay_alu instid0(VALU_DEP_1) | instskip(NEXT) | instid1(VALU_DEP_1)
	;; [unrolled: 4-line block ×3, first 2 shown]
	v_add_f32_e32 v2, v2, v28
	v_add_f32_e32 v2, v2, v29
	s_wait_dscnt 0x0
	s_delay_alu instid0(VALU_DEP_1)
	v_add_f32_e32 v8, v2, v11
.LBB13_35:                              ;   in Loop: Header=BB13_20 Depth=1
	s_or_b32 exec_lo, exec_lo, s26
	s_delay_alu instid0(SALU_CYCLE_1)
	s_and_b32 vcc_lo, exec_lo, s25
	s_cbranch_vccnz .LBB13_38
.LBB13_36:                              ;   in Loop: Header=BB13_20 Depth=1
	s_delay_alu instid0(VALU_DEP_1)
	v_mov_b32_e32 v10, v8
	s_and_saveexec_b32 s25, s17
	s_cbranch_execnz .LBB13_39
	s_branch .LBB13_40
.LBB13_37:                              ;   in Loop: Header=BB13_20 Depth=1
	s_mov_b32 s17, 0
                                        ; implicit-def: $vgpr8
	s_cbranch_execz .LBB13_36
.LBB13_38:                              ;   in Loop: Header=BB13_20 Depth=1
	s_and_not1_b32 s17, s17, exec_lo
	s_and_b32 s25, s1, exec_lo
	s_delay_alu instid0(SALU_CYCLE_1) | instskip(NEXT) | instid1(SALU_CYCLE_1)
	s_or_b32 s17, s17, s25
	s_and_saveexec_b32 s25, s17
.LBB13_39:                              ;   in Loop: Header=BB13_20 Depth=1
	ds_store_b32 v3, v10 offset:8192
.LBB13_40:                              ;   in Loop: Header=BB13_20 Depth=1
	s_or_b32 exec_lo, exec_lo, s25
	s_wait_dscnt 0x0
	s_barrier_signal -1
	s_barrier_wait -1
	s_and_saveexec_b32 s17, s2
	s_cbranch_execz .LBB13_19
; %bb.41:                               ;   in Loop: Header=BB13_20 Depth=1
	global_load_b32 v2, v3, s[14:15]
	ds_load_b32 v8, v3 offset:8192
	v_mov_b32_e32 v10, v0
	s_mov_b32 s26, -1
	s_wait_loadcnt 0x0
	v_xor_b32_e32 v2, 0x80000000, v2
	s_wait_dscnt 0x0
	s_delay_alu instid0(VALU_DEP_1)
	v_mul_f32_e32 v8, v8, v2
	v_mov_b32_e32 v2, v4
	s_wait_xcnt 0x0
	s_and_saveexec_b32 s25, s5
	s_cbranch_execz .LBB13_52
; %bb.42:                               ;   in Loop: Header=BB13_20 Depth=1
	v_mov_b64_e32 v[10:11], v[0:1]
	v_dual_mov_b32 v9, v8 :: v_dual_mov_b32 v13, 0
	s_mul_i32 s26, s22, s23
	s_and_saveexec_b32 s27, s6
	s_cbranch_execz .LBB13_46
; %bb.43:                               ;   in Loop: Header=BB13_20 Depth=1
	v_mov_b64_e32 v[10:11], v[0:1]
	v_dual_mov_b32 v2, v17 :: v_dual_mov_b32 v12, v4
	s_add_co_i32 s28, s26, 0x400
	s_add_co_i32 s29, s26, 0x800
	;; [unrolled: 1-line block ×3, first 2 shown]
	s_mov_b32 s30, s28
	s_mov_b32 s31, s29
	;; [unrolled: 1-line block ×5, first 2 shown]
.LBB13_44:                              ;   Parent Loop BB13_20 Depth=1
                                        ; =>  This Inner Loop Header: Depth=2
	v_dual_add_nc_u32 v13, s26, v10 :: v_dual_add_nc_u32 v27, s26, v11
	v_dual_add_nc_u32 v32, s30, v11 :: v_dual_add_nc_u32 v33, s28, v10
	s_add_co_i32 s36, s36, 8
	s_clause 0x1
	flat_load_b32 v28, v13, s[10:11] scale_offset
	flat_load_b32 v29, v27, s[10:11] scale_offset
	ds_load_2addr_stride64_b32 v[30:31], v12 offset1:8
	v_add_nc_u32_e32 v2, -4, v2
	s_wait_loadcnt_dscnt 0x0
	v_pk_fma_f32 v[28:29], v[8:9], v[30:31], v[28:29]
	s_clause 0x3
	flat_store_b32 v13, v28, s[10:11] scale_offset
	flat_store_b32 v27, v29, s[10:11] scale_offset
	flat_load_b32 v28, v33, s[10:11] scale_offset
	flat_load_b32 v29, v32, s[10:11] scale_offset
	ds_load_2addr_stride64_b32 v[30:31], v12 offset0:16 offset1:24
	v_dual_add_nc_u32 v13, s31, v11 :: v_dual_add_nc_u32 v27, s29, v10
	s_wait_loadcnt_dscnt 0x0
	v_pk_fma_f32 v[28:29], v[8:9], v[30:31], v[28:29]
	s_clause 0x3
	flat_store_b32 v33, v28, s[10:11] scale_offset
	flat_store_b32 v32, v29, s[10:11] scale_offset
	flat_load_b32 v28, v27, s[10:11] scale_offset
	flat_load_b32 v29, v13, s[10:11] scale_offset
	ds_load_2addr_stride64_b32 v[30:31], v12 offset0:32 offset1:40
	v_dual_add_nc_u32 v32, s33, v10 :: v_dual_add_nc_u32 v33, s35, v11
	v_add_nc_u32_e32 v11, 0x1000, v11
	v_add_nc_u32_e32 v10, 0x1000, v10
	s_wait_loadcnt_dscnt 0x0
	v_pk_fma_f32 v[28:29], v[8:9], v[30:31], v[28:29]
	s_clause 0x3
	flat_store_b32 v27, v28, s[10:11] scale_offset
	flat_store_b32 v13, v29, s[10:11] scale_offset
	flat_load_b32 v28, v32, s[10:11] scale_offset
	flat_load_b32 v29, v33, s[10:11] scale_offset
	ds_load_2addr_stride64_b32 v[30:31], v12 offset0:48 offset1:56
	v_mov_b32_e32 v13, s36
	v_cmp_eq_u32_e32 vcc_lo, 0, v2
	v_add_nc_u32_e32 v12, 0x4000, v12
	s_or_b32 s34, vcc_lo, s34
	s_wait_loadcnt_dscnt 0x0
	v_pk_fma_f32 v[28:29], v[8:9], v[30:31], v[28:29]
	s_clause 0x1
	flat_store_b32 v32, v28, s[10:11] scale_offset
	flat_store_b32 v33, v29, s[10:11] scale_offset
	s_wait_xcnt 0x0
	s_and_not1_b32 exec_lo, exec_lo, s34
	s_cbranch_execnz .LBB13_44
; %bb.45:                               ;   in Loop: Header=BB13_20 Depth=1
	s_or_b32 exec_lo, exec_lo, s34
.LBB13_46:                              ;   in Loop: Header=BB13_20 Depth=1
	s_delay_alu instid0(SALU_CYCLE_1)
	s_or_b32 exec_lo, exec_lo, s27
	s_and_saveexec_b32 s27, s7
	s_cbranch_execz .LBB13_49
; %bb.47:                               ;   in Loop: Header=BB13_20 Depth=1
	v_lshl_or_b32 v2, v13, 11, v4
	v_mov_b32_e32 v12, v16
	s_mov_b32 s28, 0
.LBB13_48:                              ;   Parent Loop BB13_20 Depth=1
                                        ; =>  This Inner Loop Header: Depth=2
	v_dual_add_nc_u32 v13, s26, v10 :: v_dual_add_nc_u32 v27, s26, v11
	s_delay_alu instid0(VALU_DEP_2)
	v_add_nc_u32_e32 v12, -1, v12
	v_add_nc_u32_e32 v11, 0x400, v11
	v_add_nc_u32_e32 v10, 0x400, v10
	s_clause 0x1
	flat_load_b32 v28, v13, s[10:11] scale_offset
	flat_load_b32 v29, v27, s[10:11] scale_offset
	ds_load_2addr_stride64_b32 v[30:31], v2 offset1:8
	v_cmp_eq_u32_e32 vcc_lo, 0, v12
	v_add_nc_u32_e32 v2, 0x1000, v2
	s_or_b32 s28, vcc_lo, s28
	s_wait_loadcnt_dscnt 0x0
	v_pk_fma_f32 v[28:29], v[8:9], v[30:31], v[28:29]
	s_clause 0x1
	flat_store_b32 v13, v28, s[10:11] scale_offset
	flat_store_b32 v27, v29, s[10:11] scale_offset
	s_wait_xcnt 0x0
	s_and_not1_b32 exec_lo, exec_lo, s28
	s_cbranch_execnz .LBB13_48
.LBB13_49:                              ;   in Loop: Header=BB13_20 Depth=1
	s_or_b32 exec_lo, exec_lo, s27
	s_mov_b32 s26, 0
                                        ; implicit-def: $vgpr2
	s_and_saveexec_b32 s27, s8
; %bb.50:                               ;   in Loop: Header=BB13_20 Depth=1
	v_lshlrev_b32_e32 v2, 2, v15
	s_mov_b32 s26, exec_lo
; %bb.51:                               ;   in Loop: Header=BB13_20 Depth=1
	s_or_b32 exec_lo, exec_lo, s27
	v_mov_b32_e32 v10, v15
	s_or_not1_b32 s26, s26, exec_lo
.LBB13_52:                              ;   in Loop: Header=BB13_20 Depth=1
	s_or_b32 exec_lo, exec_lo, s25
	s_delay_alu instid0(SALU_CYCLE_1)
	s_and_b32 exec_lo, exec_lo, s26
	s_cbranch_execz .LBB13_19
; %bb.53:                               ;   in Loop: Header=BB13_20 Depth=1
	v_ashrrev_i32_e32 v11, 31, v10
	s_add_nc_u64 s[20:21], s[10:11], s[20:21]
	s_delay_alu instid0(VALU_DEP_1) | instid1(SALU_CYCLE_1)
	v_lshl_add_u64 v[12:13], v[10:11], 2, s[20:21]
	s_mov_b32 s20, 0
.LBB13_54:                              ;   Parent Loop BB13_20 Depth=1
                                        ; =>  This Inner Loop Header: Depth=2
	flat_load_b32 v9, v[12:13]
	ds_load_b32 v11, v2
	v_add_nc_u32_e32 v10, 0x200, v10
	s_wait_loadcnt_dscnt 0x0
	v_dual_fmac_f32 v9, v8, v11 :: v_dual_add_nc_u32 v2, 0x800, v2
	s_delay_alu instid0(VALU_DEP_2) | instskip(SKIP_4) | instid1(SALU_CYCLE_1)
	v_cmp_le_i32_e32 vcc_lo, s12, v10
	flat_store_b32 v[12:13], v9
	s_wait_xcnt 0x0
	v_add_nc_u64_e32 v[12:13], 0x800, v[12:13]
	s_or_b32 s20, vcc_lo, s20
	s_and_not1_b32 exec_lo, exec_lo, s20
	s_cbranch_execnz .LBB13_54
	s_branch .LBB13_19
.LBB13_55:
	s_endpgm
	.section	.rodata,"a",@progbits
	.p2align	6, 0x0
	.amdhsa_kernel _ZN9rocsolver6v33100L22larf_left_kernel_smallILi512EfiPKPfEEvT1_S5_T2_lS5_lPKT0_lS6_lS5_l
		.amdhsa_group_segment_fixed_size 10240
		.amdhsa_private_segment_fixed_size 0
		.amdhsa_kernarg_size 88
		.amdhsa_user_sgpr_count 2
		.amdhsa_user_sgpr_dispatch_ptr 0
		.amdhsa_user_sgpr_queue_ptr 0
		.amdhsa_user_sgpr_kernarg_segment_ptr 1
		.amdhsa_user_sgpr_dispatch_id 0
		.amdhsa_user_sgpr_kernarg_preload_length 0
		.amdhsa_user_sgpr_kernarg_preload_offset 0
		.amdhsa_user_sgpr_private_segment_size 0
		.amdhsa_wavefront_size32 1
		.amdhsa_uses_dynamic_stack 0
		.amdhsa_enable_private_segment 0
		.amdhsa_system_sgpr_workgroup_id_x 1
		.amdhsa_system_sgpr_workgroup_id_y 1
		.amdhsa_system_sgpr_workgroup_id_z 0
		.amdhsa_system_sgpr_workgroup_info 0
		.amdhsa_system_vgpr_workitem_id 0
		.amdhsa_next_free_vgpr 39
		.amdhsa_next_free_sgpr 37
		.amdhsa_named_barrier_count 0
		.amdhsa_reserve_vcc 1
		.amdhsa_float_round_mode_32 0
		.amdhsa_float_round_mode_16_64 0
		.amdhsa_float_denorm_mode_32 3
		.amdhsa_float_denorm_mode_16_64 3
		.amdhsa_fp16_overflow 0
		.amdhsa_memory_ordered 1
		.amdhsa_forward_progress 1
		.amdhsa_inst_pref_size 27
		.amdhsa_round_robin_scheduling 0
		.amdhsa_exception_fp_ieee_invalid_op 0
		.amdhsa_exception_fp_denorm_src 0
		.amdhsa_exception_fp_ieee_div_zero 0
		.amdhsa_exception_fp_ieee_overflow 0
		.amdhsa_exception_fp_ieee_underflow 0
		.amdhsa_exception_fp_ieee_inexact 0
		.amdhsa_exception_int_div_zero 0
	.end_amdhsa_kernel
	.section	.text._ZN9rocsolver6v33100L22larf_left_kernel_smallILi512EfiPKPfEEvT1_S5_T2_lS5_lPKT0_lS6_lS5_l,"axG",@progbits,_ZN9rocsolver6v33100L22larf_left_kernel_smallILi512EfiPKPfEEvT1_S5_T2_lS5_lPKT0_lS6_lS5_l,comdat
.Lfunc_end13:
	.size	_ZN9rocsolver6v33100L22larf_left_kernel_smallILi512EfiPKPfEEvT1_S5_T2_lS5_lPKT0_lS6_lS5_l, .Lfunc_end13-_ZN9rocsolver6v33100L22larf_left_kernel_smallILi512EfiPKPfEEvT1_S5_T2_lS5_lPKT0_lS6_lS5_l
                                        ; -- End function
	.set _ZN9rocsolver6v33100L22larf_left_kernel_smallILi512EfiPKPfEEvT1_S5_T2_lS5_lPKT0_lS6_lS5_l.num_vgpr, 39
	.set _ZN9rocsolver6v33100L22larf_left_kernel_smallILi512EfiPKPfEEvT1_S5_T2_lS5_lPKT0_lS6_lS5_l.num_agpr, 0
	.set _ZN9rocsolver6v33100L22larf_left_kernel_smallILi512EfiPKPfEEvT1_S5_T2_lS5_lPKT0_lS6_lS5_l.numbered_sgpr, 37
	.set _ZN9rocsolver6v33100L22larf_left_kernel_smallILi512EfiPKPfEEvT1_S5_T2_lS5_lPKT0_lS6_lS5_l.num_named_barrier, 0
	.set _ZN9rocsolver6v33100L22larf_left_kernel_smallILi512EfiPKPfEEvT1_S5_T2_lS5_lPKT0_lS6_lS5_l.private_seg_size, 0
	.set _ZN9rocsolver6v33100L22larf_left_kernel_smallILi512EfiPKPfEEvT1_S5_T2_lS5_lPKT0_lS6_lS5_l.uses_vcc, 1
	.set _ZN9rocsolver6v33100L22larf_left_kernel_smallILi512EfiPKPfEEvT1_S5_T2_lS5_lPKT0_lS6_lS5_l.uses_flat_scratch, 1
	.set _ZN9rocsolver6v33100L22larf_left_kernel_smallILi512EfiPKPfEEvT1_S5_T2_lS5_lPKT0_lS6_lS5_l.has_dyn_sized_stack, 0
	.set _ZN9rocsolver6v33100L22larf_left_kernel_smallILi512EfiPKPfEEvT1_S5_T2_lS5_lPKT0_lS6_lS5_l.has_recursion, 0
	.set _ZN9rocsolver6v33100L22larf_left_kernel_smallILi512EfiPKPfEEvT1_S5_T2_lS5_lPKT0_lS6_lS5_l.has_indirect_call, 0
	.section	.AMDGPU.csdata,"",@progbits
; Kernel info:
; codeLenInByte = 3412
; TotalNumSgprs: 39
; NumVgprs: 39
; ScratchSize: 0
; MemoryBound: 0
; FloatMode: 240
; IeeeMode: 1
; LDSByteSize: 10240 bytes/workgroup (compile time only)
; SGPRBlocks: 0
; VGPRBlocks: 2
; NumSGPRsForWavesPerEU: 39
; NumVGPRsForWavesPerEU: 39
; NamedBarCnt: 0
; Occupancy: 16
; WaveLimiterHint : 1
; COMPUTE_PGM_RSRC2:SCRATCH_EN: 0
; COMPUTE_PGM_RSRC2:USER_SGPR: 2
; COMPUTE_PGM_RSRC2:TRAP_HANDLER: 0
; COMPUTE_PGM_RSRC2:TGID_X_EN: 1
; COMPUTE_PGM_RSRC2:TGID_Y_EN: 1
; COMPUTE_PGM_RSRC2:TGID_Z_EN: 0
; COMPUTE_PGM_RSRC2:TIDIG_COMP_CNT: 0
	.section	.text._ZN9rocsolver6v33100L22larf_left_kernel_smallILi1024EfiPKPfEEvT1_S5_T2_lS5_lPKT0_lS6_lS5_l,"axG",@progbits,_ZN9rocsolver6v33100L22larf_left_kernel_smallILi1024EfiPKPfEEvT1_S5_T2_lS5_lPKT0_lS6_lS5_l,comdat
	.globl	_ZN9rocsolver6v33100L22larf_left_kernel_smallILi1024EfiPKPfEEvT1_S5_T2_lS5_lPKT0_lS6_lS5_l ; -- Begin function _ZN9rocsolver6v33100L22larf_left_kernel_smallILi1024EfiPKPfEEvT1_S5_T2_lS5_lPKT0_lS6_lS5_l
	.p2align	8
	.type	_ZN9rocsolver6v33100L22larf_left_kernel_smallILi1024EfiPKPfEEvT1_S5_T2_lS5_lPKT0_lS6_lS5_l,@function
_ZN9rocsolver6v33100L22larf_left_kernel_smallILi1024EfiPKPfEEvT1_S5_T2_lS5_lPKT0_lS6_lS5_l: ; @_ZN9rocsolver6v33100L22larf_left_kernel_smallILi1024EfiPKPfEEvT1_S5_T2_lS5_lPKT0_lS6_lS5_l
; %bb.0:
	s_load_b256 s[4:11], s[0:1], 0x28
	s_bfe_u32 s2, ttmp6, 0x4000c
	s_and_b32 s3, ttmp6, 15
	s_add_co_i32 s2, s2, 1
	s_getreg_b32 s18, hwreg(HW_REG_IB_STS2, 6, 4)
	s_mul_i32 s2, ttmp9, s2
	s_load_b64 s[12:13], s[0:1], 0x0
	s_add_co_i32 s3, s3, s2
	s_cmp_eq_u32 s18, 0
	s_cselect_b32 s14, ttmp9, s3
	s_delay_alu instid0(SALU_CYCLE_1) | instskip(NEXT) | instid1(SALU_CYCLE_1)
	s_ashr_i32 s15, s14, 31
	s_lshl_b64 s[16:17], s[14:15], 3
	s_wait_kmcnt 0x0
	s_add_nc_u64 s[2:3], s[8:9], s[16:17]
	s_load_b64 s[8:9], s[2:3], 0x0
	s_wait_xcnt 0x0
	s_mov_b32 s3, 0
	v_cmp_gt_i32_e64 s2, s12, v0
	v_xad_u32 v4, v0, -1, s12
	s_and_saveexec_b32 s19, s2
	s_cbranch_execz .LBB14_17
; %bb.1:
	s_clause 0x1
	s_load_b128 s[24:27], s[0:1], 0x8
	s_load_b32 s20, s[0:1], 0x18
	s_sub_co_i32 s21, 1, s12
                                        ; implicit-def: $vgpr1
                                        ; implicit-def: $vgpr2
	s_wait_kmcnt 0x0
	s_add_nc_u64 s[16:17], s[24:25], s[16:17]
	s_lshl_b64 s[22:23], s[26:27], 2
	s_load_b64 s[16:17], s[16:17], 0x0
	s_mul_i32 s21, s20, s21
	s_cmp_lt_i32 s20, 1
	s_mov_b32 s24, -1
	s_cselect_b32 s21, s21, 0
	s_wait_kmcnt 0x0
	s_add_nc_u64 s[16:17], s[16:17], s[22:23]
	s_mov_b32 s22, exec_lo
	v_cmpx_lt_u32_e32 0x63ff, v4
	s_xor_b32 s22, exec_lo, s22
	s_cbranch_execnz .LBB14_4
; %bb.2:
	s_and_not1_saveexec_b32 s22, s22
	s_cbranch_execnz .LBB14_14
.LBB14_3:
	s_or_b32 exec_lo, exec_lo, s22
	s_delay_alu instid0(SALU_CYCLE_1)
	s_and_b32 exec_lo, exec_lo, s3
	s_cbranch_execnz .LBB14_15
	s_branch .LBB14_17
.LBB14_4:
	s_lshl_b32 s23, s20, 10
	v_mad_u32 v1, v0, s20, s21
	s_sub_co_i32 s3, 0, s23
	s_cmp_lt_i32 s23, 0
	v_lshrrev_b32_e32 v5, 10, v4
	s_cselect_b32 vcc_lo, -1, 0
	s_delay_alu instid0(SALU_CYCLE_1)
	s_and_b32 s25, vcc_lo, exec_lo
	s_cselect_b32 s25, s3, s23
	s_delay_alu instid0(VALU_DEP_1) | instid1(SALU_CYCLE_1)
	v_mul_lo_u32 v2, s25, v5
	s_delay_alu instid0(VALU_DEP_1) | instskip(NEXT) | instid1(VALU_DEP_1)
	v_sub_nc_u32_e32 v3, v1, v2
	v_cmp_gt_i32_e64 s3, v3, v1
	s_delay_alu instid0(VALU_DEP_1) | instskip(SKIP_1) | instid1(VALU_DEP_1)
	v_cndmask_b32_e64 v3, 0, 1, s3
	v_add_nc_u32_e32 v2, v1, v2
	v_cmp_lt_i32_e64 s3, v2, v1
	v_mul_hi_u32 v2, s25, v5
	s_delay_alu instid0(VALU_DEP_2) | instskip(NEXT) | instid1(VALU_DEP_1)
	v_cndmask_b32_e64 v1, 0, 1, s3
	v_cndmask_b32_e32 v1, v1, v3, vcc_lo
	s_delay_alu instid0(VALU_DEP_3) | instskip(NEXT) | instid1(VALU_DEP_2)
	v_cmp_eq_u32_e64 s3, 0, v2
	v_and_b32_e32 v1, 1, v1
	s_delay_alu instid0(VALU_DEP_1) | instskip(SKIP_2) | instid1(SALU_CYCLE_1)
	v_cmp_eq_u32_e32 vcc_lo, 1, v1
	v_mov_b32_e32 v1, v0
	s_xor_b32 s25, vcc_lo, -1
	s_and_b32 s25, s25, s3
	s_delay_alu instid0(SALU_CYCLE_1)
	s_and_saveexec_b32 s3, s25
	s_cbranch_execz .LBB14_13
; %bb.5:
	v_dual_mov_b32 v9, 0 :: v_dual_add_nc_u32 v2, -1, v5
	v_or_b32_e32 v1, 0x400, v0
	s_delay_alu instid0(VALU_DEP_2) | instskip(SKIP_1) | instid1(VALU_DEP_2)
	v_lshrrev_b32_e32 v3, 1, v2
	v_cmp_lt_u32_e32 vcc_lo, 5, v2
	v_add_nc_u32_e32 v6, 1, v3
	s_delay_alu instid0(VALU_DEP_4)
	v_mov_b64_e32 v[2:3], v[0:1]
	s_and_saveexec_b32 s24, vcc_lo
	s_cbranch_execz .LBB14_9
; %bb.6:
	v_mov_b64_e32 v[2:3], v[0:1]
	v_dual_lshlrev_b32 v8, 2, v0 :: v_dual_bitop2_b32 v7, -4, v6 bitop3:0x40
	s_mov_b32 s25, 0
	s_mov_b32 s26, 0
.LBB14_7:                               ; =>This Inner Loop Header: Depth=1
	s_delay_alu instid0(VALU_DEP_2) | instskip(NEXT) | instid1(VALU_DEP_3)
	v_mad_u32 v1, v2, s20, s21
	v_mad_u32 v9, v3, s20, s21
	s_add_co_i32 s26, s26, 8
	v_add_nc_u32_e32 v7, -4, v7
	s_clause 0x1
	flat_load_b32 v10, v1, s[16:17] scale_offset
	flat_load_b32 v11, v9, s[16:17] scale_offset
	s_wait_xcnt 0x1
	v_add_nc_u32_e32 v1, 0x800, v2
	s_wait_xcnt 0x0
	v_add_nc_u32_e32 v9, 0x800, v3
	s_delay_alu instid0(VALU_DEP_2) | instskip(NEXT) | instid1(VALU_DEP_2)
	v_mad_u32 v1, v1, s20, s21
	v_mad_u32 v9, v9, s20, s21
	s_wait_loadcnt_dscnt 0x0
	ds_store_2addr_stride64_b32 v8, v10, v11 offset1:16
	s_clause 0x1
	flat_load_b32 v10, v1, s[16:17] scale_offset
	flat_load_b32 v11, v9, s[16:17] scale_offset
	s_wait_xcnt 0x1
	v_add_nc_u32_e32 v1, 0x1000, v2
	s_wait_xcnt 0x0
	v_add_nc_u32_e32 v9, 0x1000, v3
	s_delay_alu instid0(VALU_DEP_2) | instskip(NEXT) | instid1(VALU_DEP_2)
	v_mad_u32 v1, v1, s20, s21
	v_mad_u32 v9, v9, s20, s21
	s_wait_loadcnt_dscnt 0x0
	ds_store_2addr_stride64_b32 v8, v10, v11 offset0:32 offset1:48
	s_clause 0x1
	flat_load_b32 v10, v1, s[16:17] scale_offset
	flat_load_b32 v11, v9, s[16:17] scale_offset
	s_wait_xcnt 0x1
	v_add_nc_u32_e32 v1, 0x1800, v2
	s_wait_xcnt 0x0
	v_add_nc_u32_e32 v9, 0x1800, v3
	v_add_nc_u32_e32 v3, 0x2000, v3
	;; [unrolled: 1-line block ×3, first 2 shown]
	v_mad_u32 v1, v1, s20, s21
	s_delay_alu instid0(VALU_DEP_4)
	v_mad_u32 v9, v9, s20, s21
	s_wait_loadcnt_dscnt 0x0
	ds_store_2addr_stride64_b32 v8, v10, v11 offset0:64 offset1:80
	s_clause 0x1
	flat_load_b32 v10, v1, s[16:17] scale_offset
	flat_load_b32 v11, v9, s[16:17] scale_offset
	s_wait_xcnt 0x0
	v_mov_b32_e32 v9, s26
	v_cmp_eq_u32_e32 vcc_lo, 0, v7
	s_or_b32 s25, vcc_lo, s25
	s_wait_loadcnt_dscnt 0x0
	ds_store_2addr_stride64_b32 v8, v10, v11 offset0:96 offset1:112
	v_add_nc_u32_e32 v8, 0x8000, v8
	s_and_not1_b32 exec_lo, exec_lo, s25
	s_cbranch_execnz .LBB14_7
; %bb.8:
	s_or_b32 exec_lo, exec_lo, s25
.LBB14_9:
	s_delay_alu instid0(SALU_CYCLE_1) | instskip(SKIP_3) | instid1(VALU_DEP_1)
	s_or_b32 exec_lo, exec_lo, s24
	v_and_b32_e32 v1, 3, v6
	s_mov_b32 s25, 0
	s_mov_b32 s24, exec_lo
	v_cmpx_ne_u32_e32 0, v1
	s_cbranch_execz .LBB14_12
; %bb.10:
	v_lshlrev_b32_e32 v6, 2, v0
	s_delay_alu instid0(VALU_DEP_1)
	v_lshl_or_b32 v6, v9, 12, v6
.LBB14_11:                              ; =>This Inner Loop Header: Depth=1
	v_mad_u32 v7, v2, s20, s21
	v_mad_u32 v8, v3, s20, s21
	v_add_nc_u32_e32 v1, -1, v1
	v_add_nc_u32_e32 v3, 0x800, v3
	v_add_nc_u32_e32 v2, 0x800, v2
	s_clause 0x1
	flat_load_b32 v9, v7, s[16:17] scale_offset
	flat_load_b32 v10, v8, s[16:17] scale_offset
	v_cmp_eq_u32_e32 vcc_lo, 0, v1
	s_or_b32 s25, vcc_lo, s25
	s_wait_loadcnt_dscnt 0x0
	ds_store_2addr_stride64_b32 v6, v9, v10 offset1:16
	v_add_nc_u32_e32 v6, 0x2000, v6
	s_and_not1_b32 exec_lo, exec_lo, s25
	s_cbranch_execnz .LBB14_11
.LBB14_12:
	s_or_b32 exec_lo, exec_lo, s24
	v_add_nc_u32_e32 v1, 1, v5
	s_delay_alu instid0(VALU_DEP_1) | instskip(NEXT) | instid1(VALU_DEP_1)
	v_and_b32_e32 v2, 0x7ffffe, v1
	v_cmp_ne_u32_e32 vcc_lo, v1, v2
	v_lshl_or_b32 v1, v2, 10, v0
	s_or_not1_b32 s24, vcc_lo, exec_lo
.LBB14_13:
	s_or_b32 exec_lo, exec_lo, s3
	v_mov_b32_e32 v2, s23
	s_and_b32 s3, s24, exec_lo
	s_and_not1_saveexec_b32 s22, s22
	s_cbranch_execz .LBB14_3
.LBB14_14:
	s_lshl_b32 s23, s20, 10
	s_or_b32 s3, s3, exec_lo
	v_dual_mov_b32 v2, s23 :: v_dual_mov_b32 v1, v0
	s_or_b32 exec_lo, exec_lo, s22
	s_delay_alu instid0(SALU_CYCLE_1)
	s_and_b32 exec_lo, exec_lo, s3
	s_cbranch_execz .LBB14_17
.LBB14_15:
	s_delay_alu instid0(VALU_DEP_1)
	v_mad_u32 v3, v1, s20, s21
	v_lshlrev_b32_e32 v5, 2, v1
	s_mov_b32 s3, 0
.LBB14_16:                              ; =>This Inner Loop Header: Depth=1
	flat_load_b32 v6, v3, s[16:17] scale_offset
	v_add_nc_u32_e32 v1, 0x400, v1
	s_wait_xcnt 0x0
	v_add_nc_u32_e32 v3, v3, v2
	s_delay_alu instid0(VALU_DEP_2)
	v_cmp_le_i32_e32 vcc_lo, s12, v1
	s_or_b32 s3, vcc_lo, s3
	s_wait_loadcnt_dscnt 0x0
	ds_store_b32 v5, v6
	v_add_nc_u32_e32 v5, 0x1000, v5
	s_and_not1_b32 exec_lo, exec_lo, s3
	s_cbranch_execnz .LBB14_16
.LBB14_17:
	s_or_b32 exec_lo, exec_lo, s19
	s_bfe_u32 s3, ttmp6, 0x40010
	s_bfe_u32 s16, ttmp6, 0x40004
	s_add_co_i32 s3, s3, 1
	s_wait_dscnt 0x0
	s_mul_i32 s3, ttmp7, s3
	s_barrier_signal -1
	s_add_co_i32 s16, s16, s3
	s_cmp_eq_u32 s18, 0
	s_barrier_wait -1
	s_cselect_b32 s22, ttmp7, s16
	s_delay_alu instid0(SALU_CYCLE_1)
	s_cmp_ge_i32 s22, s13
	s_cbranch_scc1 .LBB14_55
; %bb.18:
	v_lshrrev_b32_e32 v1, 10, v4
	v_and_b32_e32 v2, 31, v0
	s_load_b32 s23, s[0:1], 0x48
	s_wait_xcnt 0x0
	s_lshl_b64 s[0:1], s[10:11], 2
	s_mul_u64 s[6:7], s[6:7], s[14:15]
	v_dual_add_nc_u32 v6, 1, v1 :: v_dual_lshrrev_b32 v14, 3, v0
	s_wait_kmcnt 0x0
	s_add_nc_u64 s[10:11], s[8:9], s[0:1]
	s_lshl_b64 s[0:1], s[6:7], 2
	v_mbcnt_lo_u32_b32 v18, -1, 0
	s_add_nc_u64 s[14:15], s[4:5], s[0:1]
	v_cmp_eq_u32_e64 s0, 0, v2
	v_dual_add_nc_u32 v5, -1, v1 :: v_dual_bitop2_b32 v2, 7, v6 bitop3:0x40
	v_and_b32_e32 v7, 0x7ffffe, v6
	v_mov_b32_e32 v3, 0
	v_cmp_lt_u32_e64 s4, 0x1bff, v4
	v_cmp_lt_u32_e64 s5, 0x3ff, v4
	v_lshrrev_b32_e32 v1, 1, v5
	v_cmp_lt_u32_e64 s6, 5, v5
	v_lshlrev_b32_e32 v4, 2, v0
	v_lshl_or_b32 v15, v7, 10, v0
	v_cmp_ne_u32_e64 s8, v6, v7
	v_add_nc_u32_e32 v8, 1, v1
	v_cmp_eq_u32_e64 s1, 0, v0
	v_mov_b32_e32 v5, v3
	v_cmp_ne_u32_e64 s3, 0, v2
	v_or_b32_e32 v1, 0x400, v0
	v_and_b32_e32 v16, 3, v8
	v_and_b32_e32 v17, -4, v8
	v_add_nc_u64_e32 v[6:7], s[10:11], v[4:5]
	v_lshlrev_b32_e32 v5, 2, v2
	v_lshl_or_b32 v19, v18, 2, 64
	v_cmp_ne_u32_e64 s7, 0, v16
	v_mov_b32_e32 v20, 0x2004
	v_mov_b32_e32 v21, 0x200c
	;; [unrolled: 1-line block ×15, first 2 shown]
	s_cmp_gt_i32 s12, 1
	s_mul_i32 s16, s22, s23
	s_cselect_b32 s9, -1, 0
	s_lshl_b32 s24, s23, 6
	s_add_nc_u64 s[18:19], s[10:11], 0x7000
	s_branch .LBB14_20
.LBB14_19:                              ;   in Loop: Header=BB14_20 Depth=1
	s_or_b32 exec_lo, exec_lo, s17
	s_add_co_i32 s22, s22, 64
	s_add_co_i32 s16, s16, s24
	s_cmp_ge_i32 s22, s13
	s_cbranch_scc1 .LBB14_55
.LBB14_20:                              ; =>This Loop Header: Depth=1
                                        ;     Child Loop BB14_23 Depth 2
                                        ;     Child Loop BB14_27 Depth 2
	;; [unrolled: 1-line block ×5, first 2 shown]
	v_mov_b32_e32 v10, 0
	s_ashr_i32 s17, s16, 31
	s_delay_alu instid0(SALU_CYCLE_1)
	s_lshl_b64 s[20:21], s[16:17], 2
	s_and_saveexec_b32 s17, s2
	s_cbranch_execz .LBB14_30
; %bb.21:                               ;   in Loop: Header=BB14_20 Depth=1
	v_dual_mov_b32 v10, 0 :: v_dual_mov_b32 v2, v0
	s_and_saveexec_b32 s25, s3
	s_cbranch_execz .LBB14_25
; %bb.22:                               ;   in Loop: Header=BB14_20 Depth=1
	v_add_nc_u64_e32 v[8:9], s[20:21], v[6:7]
	v_dual_mov_b32 v10, 0 :: v_dual_mov_b32 v11, v5
	v_dual_mov_b32 v12, v4 :: v_dual_mov_b32 v2, v0
	s_mov_b32 s26, 0
.LBB14_23:                              ;   Parent Loop BB14_20 Depth=1
                                        ; =>  This Inner Loop Header: Depth=2
	flat_load_b32 v13, v[8:9]
	ds_load_b32 v35, v12
	v_add_nc_u32_e32 v11, -4, v11
	s_wait_xcnt 0x0
	v_add_nc_u64_e32 v[8:9], 0x1000, v[8:9]
	v_add_nc_u32_e32 v2, 0x400, v2
	v_add_nc_u32_e32 v12, 0x1000, v12
	s_wait_loadcnt_dscnt 0x0
	v_fmac_f32_e32 v10, v35, v13
	v_cmp_eq_u32_e32 vcc_lo, 0, v11
	s_or_b32 s26, vcc_lo, s26
	s_delay_alu instid0(SALU_CYCLE_1)
	s_and_not1_b32 exec_lo, exec_lo, s26
	s_cbranch_execnz .LBB14_23
; %bb.24:                               ;   in Loop: Header=BB14_20 Depth=1
	s_or_b32 exec_lo, exec_lo, s26
.LBB14_25:                              ;   in Loop: Header=BB14_20 Depth=1
	s_delay_alu instid0(SALU_CYCLE_1)
	s_or_b32 exec_lo, exec_lo, s25
	s_and_saveexec_b32 s25, s4
	s_cbranch_execz .LBB14_29
; %bb.26:                               ;   in Loop: Header=BB14_20 Depth=1
	s_add_nc_u64 s[26:27], s[18:19], s[20:21]
	v_lshlrev_b32_e32 v11, 2, v2
	v_lshl_add_u64 v[8:9], v[2:3], 2, s[26:27]
	s_mov_b32 s26, 0
.LBB14_27:                              ;   Parent Loop BB14_20 Depth=1
                                        ; =>  This Inner Loop Header: Depth=2
	s_clause 0x7
	flat_load_b32 v35, v[8:9] offset:-28672
	flat_load_b32 v40, v[8:9] offset:-24576
	;; [unrolled: 1-line block ×7, first 2 shown]
	flat_load_b32 v46, v[8:9]
	ds_load_2addr_stride64_b32 v[12:13], v11 offset1:16
	ds_load_2addr_stride64_b32 v[36:37], v11 offset0:32 offset1:48
	ds_load_2addr_stride64_b32 v[38:39], v11 offset0:64 offset1:80
	v_add_nc_u32_e32 v2, 0x2000, v2
	s_wait_xcnt 0x0
	v_add_nc_u64_e32 v[8:9], 0x8000, v[8:9]
	s_delay_alu instid0(VALU_DEP_2) | instskip(SKIP_4) | instid1(VALU_DEP_1)
	v_cmp_le_i32_e32 vcc_lo, s12, v2
	s_or_b32 s26, vcc_lo, s26
	s_wait_loadcnt_dscnt 0x702
	v_fmac_f32_e32 v10, v12, v35
	s_wait_loadcnt 0x6
	v_fmac_f32_e32 v10, v13, v40
	ds_load_2addr_stride64_b32 v[12:13], v11 offset0:96 offset1:112
	s_wait_loadcnt_dscnt 0x502
	v_dual_fmac_f32 v10, v36, v41 :: v_dual_add_nc_u32 v11, 0x8000, v11
	s_wait_loadcnt 0x4
	s_delay_alu instid0(VALU_DEP_1) | instskip(SKIP_1) | instid1(VALU_DEP_1)
	v_fmac_f32_e32 v10, v37, v42
	s_wait_loadcnt_dscnt 0x301
	v_fmac_f32_e32 v10, v38, v43
	s_wait_loadcnt 0x2
	s_delay_alu instid0(VALU_DEP_1) | instskip(SKIP_1) | instid1(VALU_DEP_1)
	v_fmac_f32_e32 v10, v39, v44
	s_wait_loadcnt_dscnt 0x100
	v_fmac_f32_e32 v10, v12, v45
	s_wait_loadcnt 0x0
	s_delay_alu instid0(VALU_DEP_1)
	v_fmac_f32_e32 v10, v13, v46
	s_and_not1_b32 exec_lo, exec_lo, s26
	s_cbranch_execnz .LBB14_27
; %bb.28:                               ;   in Loop: Header=BB14_20 Depth=1
	s_or_b32 exec_lo, exec_lo, s26
.LBB14_29:                              ;   in Loop: Header=BB14_20 Depth=1
	s_delay_alu instid0(SALU_CYCLE_1)
	s_or_b32 exec_lo, exec_lo, s25
.LBB14_30:                              ;   in Loop: Header=BB14_20 Depth=1
	s_delay_alu instid0(SALU_CYCLE_1) | instskip(NEXT) | instid1(SALU_CYCLE_1)
	s_or_b32 exec_lo, exec_lo, s17
	s_and_b32 vcc_lo, exec_lo, s9
	s_cbranch_vccz .LBB14_37
; %bb.31:                               ;   in Loop: Header=BB14_20 Depth=1
	v_cmp_ne_u32_e32 vcc_lo, 31, v18
	v_add_co_ci_u32_e64 v2, null, 0, v18, vcc_lo
	v_cmp_gt_u32_e32 vcc_lo, 30, v18
	s_delay_alu instid0(VALU_DEP_2)
	v_lshlrev_b32_e32 v2, 2, v2
	v_cndmask_b32_e64 v8, 0, 2, vcc_lo
	v_cmp_gt_u32_e32 vcc_lo, 28, v18
	ds_bpermute_b32 v2, v2, v10
	v_add_lshl_u32 v8, v8, v18, 2
	v_cndmask_b32_e64 v9, 0, 4, vcc_lo
	v_cmp_gt_u32_e32 vcc_lo, 24, v18
	s_delay_alu instid0(VALU_DEP_2)
	v_add_lshl_u32 v9, v9, v18, 2
	s_wait_dscnt 0x0
	v_add_f32_e32 v2, v10, v2
	ds_bpermute_b32 v8, v8, v2
	s_wait_dscnt 0x0
	v_add_f32_e32 v2, v2, v8
	ds_bpermute_b32 v8, v9, v2
	v_cndmask_b32_e64 v9, 0, 8, vcc_lo
	s_wait_dscnt 0x0
	v_add_f32_e32 v2, v2, v8
	s_delay_alu instid0(VALU_DEP_2)
	v_add_lshl_u32 v8, v9, v18, 2
	ds_bpermute_b32 v8, v8, v2
	s_wait_dscnt 0x0
	v_add_f32_e32 v2, v2, v8
	ds_bpermute_b32 v8, v19, v2
	s_wait_dscnt 0x0
	v_add_f32_e32 v2, v2, v8
	s_and_saveexec_b32 s17, s0
; %bb.32:                               ;   in Loop: Header=BB14_20 Depth=1
	ds_store_b32 v14, v2 offset:8192
; %bb.33:                               ;   in Loop: Header=BB14_20 Depth=1
	s_or_b32 exec_lo, exec_lo, s17
	s_mov_b32 s25, 0
	s_mov_b32 s17, 0
	s_wait_dscnt 0x0
	s_barrier_signal -1
	s_barrier_wait -1
                                        ; implicit-def: $vgpr8
	s_and_saveexec_b32 s26, s1
	s_delay_alu instid0(SALU_CYCLE_1)
	s_xor_b32 s26, exec_lo, s26
	s_cbranch_execz .LBB14_35
; %bb.34:                               ;   in Loop: Header=BB14_20 Depth=1
	ds_load_2addr_b32 v[8:9], v20 offset1:1
	ds_load_2addr_b32 v[12:13], v21 offset1:1
	;; [unrolled: 1-line block ×4, first 2 shown]
	s_mov_b32 s17, exec_lo
	s_wait_dscnt 0x3
	v_add_f32_e32 v2, v2, v8
	s_delay_alu instid0(VALU_DEP_1) | instskip(SKIP_3) | instid1(VALU_DEP_1)
	v_add_f32_e32 v2, v2, v9
	ds_load_2addr_b32 v[8:9], v24 offset1:1
	s_wait_dscnt 0x3
	v_add_f32_e32 v2, v2, v12
	v_add_f32_e32 v2, v2, v13
	ds_load_2addr_b32 v[12:13], v25 offset1:1
	s_wait_dscnt 0x3
	v_add_f32_e32 v2, v2, v36
	s_delay_alu instid0(VALU_DEP_1) | instskip(SKIP_1) | instid1(VALU_DEP_1)
	v_add_f32_e32 v2, v2, v37
	s_wait_dscnt 0x2
	v_add_f32_e32 v2, v2, v38
	s_delay_alu instid0(VALU_DEP_1) | instskip(SKIP_4) | instid1(VALU_DEP_1)
	v_add_f32_e32 v2, v2, v39
	ds_load_2addr_b32 v[36:37], v26 offset1:1
	ds_load_2addr_b32 v[38:39], v27 offset1:1
	s_wait_dscnt 0x3
	v_add_f32_e32 v2, v2, v8
	v_add_f32_e32 v2, v2, v9
	ds_load_2addr_b32 v[8:9], v28 offset1:1
	s_wait_dscnt 0x3
	v_add_f32_e32 v2, v2, v12
	s_delay_alu instid0(VALU_DEP_1) | instskip(SKIP_3) | instid1(VALU_DEP_1)
	v_add_f32_e32 v2, v2, v13
	ds_load_2addr_b32 v[12:13], v29 offset1:1
	s_wait_dscnt 0x3
	v_add_f32_e32 v2, v2, v36
	v_add_f32_e32 v2, v2, v37
	s_wait_dscnt 0x2
	s_delay_alu instid0(VALU_DEP_1) | instskip(NEXT) | instid1(VALU_DEP_1)
	v_add_f32_e32 v2, v2, v38
	v_add_f32_e32 v2, v2, v39
	ds_load_2addr_b32 v[36:37], v30 offset1:1
	ds_load_2addr_b32 v[38:39], v31 offset1:1
	s_wait_dscnt 0x3
	v_add_f32_e32 v2, v2, v8
	s_delay_alu instid0(VALU_DEP_1) | instskip(SKIP_3) | instid1(VALU_DEP_1)
	v_add_f32_e32 v2, v2, v9
	ds_load_2addr_b32 v[8:9], v32 offset1:1
	s_wait_dscnt 0x3
	v_add_f32_e32 v2, v2, v12
	v_add_f32_e32 v2, v2, v13
	ds_load_2addr_b32 v[12:13], v33 offset1:1
	s_wait_dscnt 0x3
	v_add_f32_e32 v2, v2, v36
	s_delay_alu instid0(VALU_DEP_1) | instskip(SKIP_4) | instid1(VALU_DEP_1)
	v_add_f32_e32 v2, v2, v37
	ds_load_2addr_b32 v[36:37], v34 offset1:1
	ds_load_b32 v11, v3 offset:8316
	s_wait_dscnt 0x4
	v_add_f32_e32 v2, v2, v38
	v_add_f32_e32 v2, v2, v39
	s_wait_dscnt 0x3
	s_delay_alu instid0(VALU_DEP_1) | instskip(NEXT) | instid1(VALU_DEP_1)
	v_add_f32_e32 v2, v2, v8
	v_add_f32_e32 v2, v2, v9
	s_wait_dscnt 0x2
	s_delay_alu instid0(VALU_DEP_1) | instskip(NEXT) | instid1(VALU_DEP_1)
	v_add_f32_e32 v2, v2, v12
	v_add_f32_e32 v2, v2, v13
	s_wait_dscnt 0x1
	s_delay_alu instid0(VALU_DEP_1) | instskip(NEXT) | instid1(VALU_DEP_1)
	v_add_f32_e32 v2, v2, v36
	v_add_f32_e32 v2, v2, v37
	s_wait_dscnt 0x0
	s_delay_alu instid0(VALU_DEP_1)
	v_add_f32_e32 v8, v2, v11
.LBB14_35:                              ;   in Loop: Header=BB14_20 Depth=1
	s_or_b32 exec_lo, exec_lo, s26
	s_delay_alu instid0(SALU_CYCLE_1)
	s_and_b32 vcc_lo, exec_lo, s25
	s_cbranch_vccnz .LBB14_38
.LBB14_36:                              ;   in Loop: Header=BB14_20 Depth=1
	s_delay_alu instid0(VALU_DEP_1)
	v_mov_b32_e32 v10, v8
	s_and_saveexec_b32 s25, s17
	s_cbranch_execnz .LBB14_39
	s_branch .LBB14_40
.LBB14_37:                              ;   in Loop: Header=BB14_20 Depth=1
	s_mov_b32 s17, 0
                                        ; implicit-def: $vgpr8
	s_cbranch_execz .LBB14_36
.LBB14_38:                              ;   in Loop: Header=BB14_20 Depth=1
	s_and_not1_b32 s17, s17, exec_lo
	s_and_b32 s25, s1, exec_lo
	s_delay_alu instid0(SALU_CYCLE_1) | instskip(NEXT) | instid1(SALU_CYCLE_1)
	s_or_b32 s17, s17, s25
	s_and_saveexec_b32 s25, s17
.LBB14_39:                              ;   in Loop: Header=BB14_20 Depth=1
	ds_store_b32 v3, v10 offset:8192
.LBB14_40:                              ;   in Loop: Header=BB14_20 Depth=1
	s_or_b32 exec_lo, exec_lo, s25
	s_wait_dscnt 0x0
	s_barrier_signal -1
	s_barrier_wait -1
	s_and_saveexec_b32 s17, s2
	s_cbranch_execz .LBB14_19
; %bb.41:                               ;   in Loop: Header=BB14_20 Depth=1
	global_load_b32 v2, v3, s[14:15]
	ds_load_b32 v8, v3 offset:8192
	v_mov_b32_e32 v10, v0
	s_mov_b32 s26, -1
	s_wait_loadcnt 0x0
	v_xor_b32_e32 v2, 0x80000000, v2
	s_wait_dscnt 0x0
	s_delay_alu instid0(VALU_DEP_1)
	v_mul_f32_e32 v8, v8, v2
	v_mov_b32_e32 v2, v4
	s_wait_xcnt 0x0
	s_and_saveexec_b32 s25, s5
	s_cbranch_execz .LBB14_52
; %bb.42:                               ;   in Loop: Header=BB14_20 Depth=1
	v_mov_b64_e32 v[10:11], v[0:1]
	v_dual_mov_b32 v9, v8 :: v_dual_mov_b32 v13, 0
	s_mul_i32 s26, s22, s23
	s_and_saveexec_b32 s27, s6
	s_cbranch_execz .LBB14_46
; %bb.43:                               ;   in Loop: Header=BB14_20 Depth=1
	v_mov_b64_e32 v[10:11], v[0:1]
	v_dual_mov_b32 v2, v17 :: v_dual_mov_b32 v12, v4
	s_add_co_i32 s28, s26, 0x800
	s_add_co_i32 s29, s26, 0x1000
	;; [unrolled: 1-line block ×3, first 2 shown]
	s_mov_b32 s30, s28
	s_mov_b32 s31, s29
	s_mov_b32 s35, s33
	s_mov_b32 s34, 0
	s_mov_b32 s36, 0
.LBB14_44:                              ;   Parent Loop BB14_20 Depth=1
                                        ; =>  This Inner Loop Header: Depth=2
	v_dual_add_nc_u32 v13, s26, v10 :: v_dual_add_nc_u32 v35, s26, v11
	v_dual_add_nc_u32 v40, s30, v11 :: v_dual_add_nc_u32 v41, s28, v10
	s_add_co_i32 s36, s36, 8
	s_clause 0x1
	flat_load_b32 v36, v13, s[10:11] scale_offset
	flat_load_b32 v37, v35, s[10:11] scale_offset
	ds_load_2addr_stride64_b32 v[38:39], v12 offset1:16
	v_add_nc_u32_e32 v2, -4, v2
	s_wait_loadcnt_dscnt 0x0
	v_pk_fma_f32 v[36:37], v[8:9], v[38:39], v[36:37]
	s_clause 0x3
	flat_store_b32 v13, v36, s[10:11] scale_offset
	flat_store_b32 v35, v37, s[10:11] scale_offset
	flat_load_b32 v36, v41, s[10:11] scale_offset
	flat_load_b32 v37, v40, s[10:11] scale_offset
	ds_load_2addr_stride64_b32 v[38:39], v12 offset0:32 offset1:48
	v_dual_add_nc_u32 v13, s31, v11 :: v_dual_add_nc_u32 v35, s29, v10
	s_wait_loadcnt_dscnt 0x0
	v_pk_fma_f32 v[36:37], v[8:9], v[38:39], v[36:37]
	s_clause 0x3
	flat_store_b32 v41, v36, s[10:11] scale_offset
	flat_store_b32 v40, v37, s[10:11] scale_offset
	flat_load_b32 v36, v35, s[10:11] scale_offset
	flat_load_b32 v37, v13, s[10:11] scale_offset
	ds_load_2addr_stride64_b32 v[38:39], v12 offset0:64 offset1:80
	v_dual_add_nc_u32 v40, s33, v10 :: v_dual_add_nc_u32 v41, s35, v11
	v_add_nc_u32_e32 v11, 0x2000, v11
	v_add_nc_u32_e32 v10, 0x2000, v10
	s_wait_loadcnt_dscnt 0x0
	v_pk_fma_f32 v[36:37], v[8:9], v[38:39], v[36:37]
	s_clause 0x3
	flat_store_b32 v35, v36, s[10:11] scale_offset
	flat_store_b32 v13, v37, s[10:11] scale_offset
	flat_load_b32 v36, v40, s[10:11] scale_offset
	flat_load_b32 v37, v41, s[10:11] scale_offset
	ds_load_2addr_stride64_b32 v[38:39], v12 offset0:96 offset1:112
	v_mov_b32_e32 v13, s36
	v_cmp_eq_u32_e32 vcc_lo, 0, v2
	v_add_nc_u32_e32 v12, 0x8000, v12
	s_or_b32 s34, vcc_lo, s34
	s_wait_loadcnt_dscnt 0x0
	v_pk_fma_f32 v[36:37], v[8:9], v[38:39], v[36:37]
	s_clause 0x1
	flat_store_b32 v40, v36, s[10:11] scale_offset
	flat_store_b32 v41, v37, s[10:11] scale_offset
	s_wait_xcnt 0x0
	s_and_not1_b32 exec_lo, exec_lo, s34
	s_cbranch_execnz .LBB14_44
; %bb.45:                               ;   in Loop: Header=BB14_20 Depth=1
	s_or_b32 exec_lo, exec_lo, s34
.LBB14_46:                              ;   in Loop: Header=BB14_20 Depth=1
	s_delay_alu instid0(SALU_CYCLE_1)
	s_or_b32 exec_lo, exec_lo, s27
	s_and_saveexec_b32 s27, s7
	s_cbranch_execz .LBB14_49
; %bb.47:                               ;   in Loop: Header=BB14_20 Depth=1
	v_lshl_or_b32 v2, v13, 12, v4
	v_mov_b32_e32 v12, v16
	s_mov_b32 s28, 0
.LBB14_48:                              ;   Parent Loop BB14_20 Depth=1
                                        ; =>  This Inner Loop Header: Depth=2
	v_dual_add_nc_u32 v13, s26, v10 :: v_dual_add_nc_u32 v35, s26, v11
	s_delay_alu instid0(VALU_DEP_2)
	v_add_nc_u32_e32 v12, -1, v12
	v_add_nc_u32_e32 v11, 0x800, v11
	v_add_nc_u32_e32 v10, 0x800, v10
	s_clause 0x1
	flat_load_b32 v36, v13, s[10:11] scale_offset
	flat_load_b32 v37, v35, s[10:11] scale_offset
	ds_load_2addr_stride64_b32 v[38:39], v2 offset1:16
	v_cmp_eq_u32_e32 vcc_lo, 0, v12
	v_add_nc_u32_e32 v2, 0x2000, v2
	s_or_b32 s28, vcc_lo, s28
	s_wait_loadcnt_dscnt 0x0
	v_pk_fma_f32 v[36:37], v[8:9], v[38:39], v[36:37]
	s_clause 0x1
	flat_store_b32 v13, v36, s[10:11] scale_offset
	flat_store_b32 v35, v37, s[10:11] scale_offset
	s_wait_xcnt 0x0
	s_and_not1_b32 exec_lo, exec_lo, s28
	s_cbranch_execnz .LBB14_48
.LBB14_49:                              ;   in Loop: Header=BB14_20 Depth=1
	s_or_b32 exec_lo, exec_lo, s27
	s_mov_b32 s26, 0
                                        ; implicit-def: $vgpr2
	s_and_saveexec_b32 s27, s8
; %bb.50:                               ;   in Loop: Header=BB14_20 Depth=1
	v_lshlrev_b32_e32 v2, 2, v15
	s_mov_b32 s26, exec_lo
; %bb.51:                               ;   in Loop: Header=BB14_20 Depth=1
	s_or_b32 exec_lo, exec_lo, s27
	v_mov_b32_e32 v10, v15
	s_or_not1_b32 s26, s26, exec_lo
.LBB14_52:                              ;   in Loop: Header=BB14_20 Depth=1
	s_or_b32 exec_lo, exec_lo, s25
	s_delay_alu instid0(SALU_CYCLE_1)
	s_and_b32 exec_lo, exec_lo, s26
	s_cbranch_execz .LBB14_19
; %bb.53:                               ;   in Loop: Header=BB14_20 Depth=1
	v_ashrrev_i32_e32 v11, 31, v10
	s_add_nc_u64 s[20:21], s[10:11], s[20:21]
	s_delay_alu instid0(VALU_DEP_1) | instid1(SALU_CYCLE_1)
	v_lshl_add_u64 v[12:13], v[10:11], 2, s[20:21]
	s_mov_b32 s20, 0
.LBB14_54:                              ;   Parent Loop BB14_20 Depth=1
                                        ; =>  This Inner Loop Header: Depth=2
	flat_load_b32 v9, v[12:13]
	ds_load_b32 v11, v2
	v_add_nc_u32_e32 v10, 0x400, v10
	s_wait_loadcnt_dscnt 0x0
	v_dual_fmac_f32 v9, v8, v11 :: v_dual_add_nc_u32 v2, 0x1000, v2
	s_delay_alu instid0(VALU_DEP_2) | instskip(SKIP_4) | instid1(SALU_CYCLE_1)
	v_cmp_le_i32_e32 vcc_lo, s12, v10
	flat_store_b32 v[12:13], v9
	s_wait_xcnt 0x0
	v_add_nc_u64_e32 v[12:13], 0x1000, v[12:13]
	s_or_b32 s20, vcc_lo, s20
	s_and_not1_b32 exec_lo, exec_lo, s20
	s_cbranch_execnz .LBB14_54
	s_branch .LBB14_19
.LBB14_55:
	s_endpgm
	.section	.rodata,"a",@progbits
	.p2align	6, 0x0
	.amdhsa_kernel _ZN9rocsolver6v33100L22larf_left_kernel_smallILi1024EfiPKPfEEvT1_S5_T2_lS5_lPKT0_lS6_lS5_l
		.amdhsa_group_segment_fixed_size 12288
		.amdhsa_private_segment_fixed_size 0
		.amdhsa_kernarg_size 88
		.amdhsa_user_sgpr_count 2
		.amdhsa_user_sgpr_dispatch_ptr 0
		.amdhsa_user_sgpr_queue_ptr 0
		.amdhsa_user_sgpr_kernarg_segment_ptr 1
		.amdhsa_user_sgpr_dispatch_id 0
		.amdhsa_user_sgpr_kernarg_preload_length 0
		.amdhsa_user_sgpr_kernarg_preload_offset 0
		.amdhsa_user_sgpr_private_segment_size 0
		.amdhsa_wavefront_size32 1
		.amdhsa_uses_dynamic_stack 0
		.amdhsa_enable_private_segment 0
		.amdhsa_system_sgpr_workgroup_id_x 1
		.amdhsa_system_sgpr_workgroup_id_y 1
		.amdhsa_system_sgpr_workgroup_id_z 0
		.amdhsa_system_sgpr_workgroup_info 0
		.amdhsa_system_vgpr_workitem_id 0
		.amdhsa_next_free_vgpr 47
		.amdhsa_next_free_sgpr 37
		.amdhsa_named_barrier_count 0
		.amdhsa_reserve_vcc 1
		.amdhsa_float_round_mode_32 0
		.amdhsa_float_round_mode_16_64 0
		.amdhsa_float_denorm_mode_32 3
		.amdhsa_float_denorm_mode_16_64 3
		.amdhsa_fp16_overflow 0
		.amdhsa_memory_ordered 1
		.amdhsa_forward_progress 1
		.amdhsa_inst_pref_size 29
		.amdhsa_round_robin_scheduling 0
		.amdhsa_exception_fp_ieee_invalid_op 0
		.amdhsa_exception_fp_denorm_src 0
		.amdhsa_exception_fp_ieee_div_zero 0
		.amdhsa_exception_fp_ieee_overflow 0
		.amdhsa_exception_fp_ieee_underflow 0
		.amdhsa_exception_fp_ieee_inexact 0
		.amdhsa_exception_int_div_zero 0
	.end_amdhsa_kernel
	.section	.text._ZN9rocsolver6v33100L22larf_left_kernel_smallILi1024EfiPKPfEEvT1_S5_T2_lS5_lPKT0_lS6_lS5_l,"axG",@progbits,_ZN9rocsolver6v33100L22larf_left_kernel_smallILi1024EfiPKPfEEvT1_S5_T2_lS5_lPKT0_lS6_lS5_l,comdat
.Lfunc_end14:
	.size	_ZN9rocsolver6v33100L22larf_left_kernel_smallILi1024EfiPKPfEEvT1_S5_T2_lS5_lPKT0_lS6_lS5_l, .Lfunc_end14-_ZN9rocsolver6v33100L22larf_left_kernel_smallILi1024EfiPKPfEEvT1_S5_T2_lS5_lPKT0_lS6_lS5_l
                                        ; -- End function
	.set _ZN9rocsolver6v33100L22larf_left_kernel_smallILi1024EfiPKPfEEvT1_S5_T2_lS5_lPKT0_lS6_lS5_l.num_vgpr, 47
	.set _ZN9rocsolver6v33100L22larf_left_kernel_smallILi1024EfiPKPfEEvT1_S5_T2_lS5_lPKT0_lS6_lS5_l.num_agpr, 0
	.set _ZN9rocsolver6v33100L22larf_left_kernel_smallILi1024EfiPKPfEEvT1_S5_T2_lS5_lPKT0_lS6_lS5_l.numbered_sgpr, 37
	.set _ZN9rocsolver6v33100L22larf_left_kernel_smallILi1024EfiPKPfEEvT1_S5_T2_lS5_lPKT0_lS6_lS5_l.num_named_barrier, 0
	.set _ZN9rocsolver6v33100L22larf_left_kernel_smallILi1024EfiPKPfEEvT1_S5_T2_lS5_lPKT0_lS6_lS5_l.private_seg_size, 0
	.set _ZN9rocsolver6v33100L22larf_left_kernel_smallILi1024EfiPKPfEEvT1_S5_T2_lS5_lPKT0_lS6_lS5_l.uses_vcc, 1
	.set _ZN9rocsolver6v33100L22larf_left_kernel_smallILi1024EfiPKPfEEvT1_S5_T2_lS5_lPKT0_lS6_lS5_l.uses_flat_scratch, 1
	.set _ZN9rocsolver6v33100L22larf_left_kernel_smallILi1024EfiPKPfEEvT1_S5_T2_lS5_lPKT0_lS6_lS5_l.has_dyn_sized_stack, 0
	.set _ZN9rocsolver6v33100L22larf_left_kernel_smallILi1024EfiPKPfEEvT1_S5_T2_lS5_lPKT0_lS6_lS5_l.has_recursion, 0
	.set _ZN9rocsolver6v33100L22larf_left_kernel_smallILi1024EfiPKPfEEvT1_S5_T2_lS5_lPKT0_lS6_lS5_l.has_indirect_call, 0
	.section	.AMDGPU.csdata,"",@progbits
; Kernel info:
; codeLenInByte = 3656
; TotalNumSgprs: 39
; NumVgprs: 47
; ScratchSize: 0
; MemoryBound: 0
; FloatMode: 240
; IeeeMode: 1
; LDSByteSize: 12288 bytes/workgroup (compile time only)
; SGPRBlocks: 0
; VGPRBlocks: 2
; NumSGPRsForWavesPerEU: 39
; NumVGPRsForWavesPerEU: 47
; NamedBarCnt: 0
; Occupancy: 16
; WaveLimiterHint : 1
; COMPUTE_PGM_RSRC2:SCRATCH_EN: 0
; COMPUTE_PGM_RSRC2:USER_SGPR: 2
; COMPUTE_PGM_RSRC2:TRAP_HANDLER: 0
; COMPUTE_PGM_RSRC2:TGID_X_EN: 1
; COMPUTE_PGM_RSRC2:TGID_Y_EN: 1
; COMPUTE_PGM_RSRC2:TGID_Z_EN: 0
; COMPUTE_PGM_RSRC2:TIDIG_COMP_CNT: 0
	.section	.text._ZN9rocsolver6v33100L23larf_right_kernel_smallILi64EfiPKPfEEvT1_S5_T2_lS5_lPKT0_lS6_lS5_l,"axG",@progbits,_ZN9rocsolver6v33100L23larf_right_kernel_smallILi64EfiPKPfEEvT1_S5_T2_lS5_lPKT0_lS6_lS5_l,comdat
	.globl	_ZN9rocsolver6v33100L23larf_right_kernel_smallILi64EfiPKPfEEvT1_S5_T2_lS5_lPKT0_lS6_lS5_l ; -- Begin function _ZN9rocsolver6v33100L23larf_right_kernel_smallILi64EfiPKPfEEvT1_S5_T2_lS5_lPKT0_lS6_lS5_l
	.p2align	8
	.type	_ZN9rocsolver6v33100L23larf_right_kernel_smallILi64EfiPKPfEEvT1_S5_T2_lS5_lPKT0_lS6_lS5_l,@function
_ZN9rocsolver6v33100L23larf_right_kernel_smallILi64EfiPKPfEEvT1_S5_T2_lS5_lPKT0_lS6_lS5_l: ; @_ZN9rocsolver6v33100L23larf_right_kernel_smallILi64EfiPKPfEEvT1_S5_T2_lS5_lPKT0_lS6_lS5_l
; %bb.0:
	s_load_b256 s[4:11], s[0:1], 0x28
	s_bfe_u32 s2, ttmp6, 0x4000c
	s_and_b32 s3, ttmp6, 15
	s_add_co_i32 s2, s2, 1
	s_getreg_b32 s18, hwreg(HW_REG_IB_STS2, 6, 4)
	s_mul_i32 s2, ttmp9, s2
	s_load_b64 s[12:13], s[0:1], 0x0
	s_add_co_i32 s3, s3, s2
	s_cmp_eq_u32 s18, 0
	s_cselect_b32 s14, ttmp9, s3
	s_delay_alu instid0(SALU_CYCLE_1) | instskip(NEXT) | instid1(SALU_CYCLE_1)
	s_ashr_i32 s15, s14, 31
	s_lshl_b64 s[16:17], s[14:15], 3
	s_wait_kmcnt 0x0
	s_add_nc_u64 s[2:3], s[8:9], s[16:17]
	s_load_b64 s[8:9], s[2:3], 0x0
	s_wait_xcnt 0x0
	s_mov_b32 s3, 0
	v_cmp_gt_i32_e64 s2, s13, v0
	s_and_saveexec_b32 s19, s2
	s_cbranch_execz .LBB15_17
; %bb.1:
	s_clause 0x1
	s_load_b128 s[24:27], s[0:1], 0x8
	s_load_b32 s20, s[0:1], 0x18
	s_sub_co_i32 s21, 1, s13
	v_xad_u32 v3, v0, -1, s13
                                        ; implicit-def: $vgpr1
                                        ; implicit-def: $vgpr2
	s_wait_kmcnt 0x0
	s_add_nc_u64 s[16:17], s[24:25], s[16:17]
	s_lshl_b64 s[22:23], s[26:27], 2
	s_load_b64 s[16:17], s[16:17], 0x0
	s_mul_i32 s21, s20, s21
	s_cmp_lt_i32 s20, 1
	s_mov_b32 s24, -1
	s_cselect_b32 s21, s21, 0
	s_wait_kmcnt 0x0
	s_add_nc_u64 s[16:17], s[16:17], s[22:23]
	s_mov_b32 s22, exec_lo
	v_cmpx_lt_u32_e32 0x63f, v3
	s_xor_b32 s22, exec_lo, s22
	s_cbranch_execnz .LBB15_4
; %bb.2:
	s_and_not1_saveexec_b32 s22, s22
	s_cbranch_execnz .LBB15_14
.LBB15_3:
	s_or_b32 exec_lo, exec_lo, s22
	s_delay_alu instid0(SALU_CYCLE_1)
	s_and_b32 exec_lo, exec_lo, s3
	s_cbranch_execnz .LBB15_15
	s_branch .LBB15_17
.LBB15_4:
	s_lshl_b32 s23, s20, 6
	v_mad_u32 v1, v0, s20, s21
	s_sub_co_i32 s3, 0, s23
	s_cmp_lt_i32 s23, 0
	v_lshrrev_b32_e32 v4, 6, v3
	s_cselect_b32 vcc_lo, -1, 0
	s_delay_alu instid0(SALU_CYCLE_1)
	s_and_b32 s25, vcc_lo, exec_lo
	s_cselect_b32 s25, s3, s23
	s_delay_alu instid0(VALU_DEP_1) | instid1(SALU_CYCLE_1)
	v_mul_lo_u32 v2, s25, v4
	s_delay_alu instid0(VALU_DEP_1) | instskip(NEXT) | instid1(VALU_DEP_1)
	v_sub_nc_u32_e32 v3, v1, v2
	v_cmp_gt_i32_e64 s3, v3, v1
	s_delay_alu instid0(VALU_DEP_1) | instskip(SKIP_1) | instid1(VALU_DEP_1)
	v_cndmask_b32_e64 v3, 0, 1, s3
	v_add_nc_u32_e32 v2, v1, v2
	v_cmp_lt_i32_e64 s3, v2, v1
	v_mul_hi_u32 v2, s25, v4
	s_delay_alu instid0(VALU_DEP_2) | instskip(NEXT) | instid1(VALU_DEP_1)
	v_cndmask_b32_e64 v1, 0, 1, s3
	v_cndmask_b32_e32 v1, v1, v3, vcc_lo
	s_delay_alu instid0(VALU_DEP_3) | instskip(NEXT) | instid1(VALU_DEP_2)
	v_cmp_eq_u32_e64 s3, 0, v2
	v_and_b32_e32 v1, 1, v1
	s_delay_alu instid0(VALU_DEP_1) | instskip(SKIP_2) | instid1(SALU_CYCLE_1)
	v_cmp_eq_u32_e32 vcc_lo, 1, v1
	v_mov_b32_e32 v1, v0
	s_xor_b32 s25, vcc_lo, -1
	s_and_b32 s25, s25, s3
	s_delay_alu instid0(SALU_CYCLE_1)
	s_and_saveexec_b32 s3, s25
	s_cbranch_execz .LBB15_13
; %bb.5:
	v_dual_add_nc_u32 v2, -1, v4 :: v_dual_mov_b32 v8, 0
	s_delay_alu instid0(VALU_DEP_1) | instskip(SKIP_1) | instid1(VALU_DEP_2)
	v_dual_lshrrev_b32 v3, 1, v2 :: v_dual_bitop2_b32 v1, 64, v0 bitop3:0x54
	v_cmp_lt_u32_e32 vcc_lo, 5, v2
	v_add_nc_u32_e32 v5, 1, v3
	s_delay_alu instid0(VALU_DEP_3)
	v_mov_b64_e32 v[2:3], v[0:1]
	s_and_saveexec_b32 s24, vcc_lo
	s_cbranch_execz .LBB15_9
; %bb.6:
	v_mov_b64_e32 v[2:3], v[0:1]
	v_dual_lshlrev_b32 v7, 2, v0 :: v_dual_bitop2_b32 v6, -4, v5 bitop3:0x40
	s_mov_b32 s25, 0
	s_mov_b32 s26, 0
.LBB15_7:                               ; =>This Inner Loop Header: Depth=1
	s_delay_alu instid0(VALU_DEP_2) | instskip(NEXT) | instid1(VALU_DEP_3)
	v_mad_u32 v1, v2, s20, s21
	v_mad_u32 v8, v3, s20, s21
	s_add_co_i32 s26, s26, 8
	v_add_nc_u32_e32 v6, -4, v6
	s_clause 0x1
	flat_load_b32 v9, v1, s[16:17] scale_offset
	flat_load_b32 v10, v8, s[16:17] scale_offset
	s_wait_xcnt 0x1
	v_add_nc_u32_e32 v1, 0x80, v2
	s_wait_xcnt 0x0
	v_add_nc_u32_e32 v8, 0x80, v3
	v_cmp_eq_u32_e32 vcc_lo, 0, v6
	s_delay_alu instid0(VALU_DEP_3) | instskip(NEXT) | instid1(VALU_DEP_3)
	v_mad_u32 v1, v1, s20, s21
	v_mad_u32 v8, v8, s20, s21
	s_or_b32 s25, vcc_lo, s25
	s_wait_loadcnt_dscnt 0x0
	ds_store_2addr_stride64_b32 v7, v9, v10 offset1:1
	s_clause 0x1
	flat_load_b32 v9, v1, s[16:17] scale_offset
	flat_load_b32 v10, v8, s[16:17] scale_offset
	s_wait_xcnt 0x1
	v_add_nc_u32_e32 v1, 0x100, v2
	s_wait_xcnt 0x0
	v_add_nc_u32_e32 v8, 0x100, v3
	s_delay_alu instid0(VALU_DEP_2) | instskip(NEXT) | instid1(VALU_DEP_2)
	v_mad_u32 v1, v1, s20, s21
	v_mad_u32 v8, v8, s20, s21
	s_wait_loadcnt_dscnt 0x0
	ds_store_2addr_stride64_b32 v7, v9, v10 offset0:2 offset1:3
	s_clause 0x1
	flat_load_b32 v9, v1, s[16:17] scale_offset
	flat_load_b32 v10, v8, s[16:17] scale_offset
	s_wait_xcnt 0x1
	v_add_nc_u32_e32 v1, 0x180, v2
	s_wait_xcnt 0x0
	v_add_nc_u32_e32 v8, 0x180, v3
	v_add_nc_u32_e32 v3, 0x200, v3
	;; [unrolled: 1-line block ×3, first 2 shown]
	v_mad_u32 v1, v1, s20, s21
	s_delay_alu instid0(VALU_DEP_4)
	v_mad_u32 v8, v8, s20, s21
	s_wait_loadcnt_dscnt 0x0
	ds_store_2addr_stride64_b32 v7, v9, v10 offset0:4 offset1:5
	s_clause 0x1
	flat_load_b32 v9, v1, s[16:17] scale_offset
	flat_load_b32 v10, v8, s[16:17] scale_offset
	s_wait_xcnt 0x0
	v_mov_b32_e32 v8, s26
	s_wait_loadcnt_dscnt 0x0
	ds_store_2addr_stride64_b32 v7, v9, v10 offset0:6 offset1:7
	v_add_nc_u32_e32 v7, 0x800, v7
	s_and_not1_b32 exec_lo, exec_lo, s25
	s_cbranch_execnz .LBB15_7
; %bb.8:
	s_or_b32 exec_lo, exec_lo, s25
.LBB15_9:
	s_delay_alu instid0(SALU_CYCLE_1) | instskip(SKIP_3) | instid1(VALU_DEP_1)
	s_or_b32 exec_lo, exec_lo, s24
	v_and_b32_e32 v1, 3, v5
	s_mov_b32 s25, 0
	s_mov_b32 s24, exec_lo
	v_cmpx_ne_u32_e32 0, v1
	s_cbranch_execz .LBB15_12
; %bb.10:
	v_lshlrev_b32_e32 v5, 2, v0
	s_delay_alu instid0(VALU_DEP_1)
	v_lshl_or_b32 v5, v8, 8, v5
.LBB15_11:                              ; =>This Inner Loop Header: Depth=1
	v_mad_u32 v6, v2, s20, s21
	v_mad_u32 v7, v3, s20, s21
	v_add_nc_u32_e32 v1, -1, v1
	v_add_nc_u32_e32 v3, 0x80, v3
	v_add_nc_u32_e32 v2, 0x80, v2
	s_clause 0x1
	flat_load_b32 v8, v6, s[16:17] scale_offset
	flat_load_b32 v9, v7, s[16:17] scale_offset
	v_cmp_eq_u32_e32 vcc_lo, 0, v1
	s_or_b32 s25, vcc_lo, s25
	s_wait_loadcnt_dscnt 0x0
	ds_store_2addr_stride64_b32 v5, v8, v9 offset1:1
	v_add_nc_u32_e32 v5, 0x200, v5
	s_and_not1_b32 exec_lo, exec_lo, s25
	s_cbranch_execnz .LBB15_11
.LBB15_12:
	s_or_b32 exec_lo, exec_lo, s24
	v_add_nc_u32_e32 v1, 1, v4
	s_delay_alu instid0(VALU_DEP_1) | instskip(NEXT) | instid1(VALU_DEP_1)
	v_and_b32_e32 v2, 0x7fffffe, v1
	v_cmp_ne_u32_e32 vcc_lo, v1, v2
	v_lshl_or_b32 v1, v2, 6, v0
	s_or_not1_b32 s24, vcc_lo, exec_lo
.LBB15_13:
	s_or_b32 exec_lo, exec_lo, s3
	v_mov_b32_e32 v2, s23
	s_and_b32 s3, s24, exec_lo
	s_and_not1_saveexec_b32 s22, s22
	s_cbranch_execz .LBB15_3
.LBB15_14:
	s_lshl_b32 s23, s20, 6
	s_or_b32 s3, s3, exec_lo
	v_dual_mov_b32 v2, s23 :: v_dual_mov_b32 v1, v0
	s_or_b32 exec_lo, exec_lo, s22
	s_delay_alu instid0(SALU_CYCLE_1)
	s_and_b32 exec_lo, exec_lo, s3
	s_cbranch_execz .LBB15_17
.LBB15_15:
	s_delay_alu instid0(VALU_DEP_1)
	v_mad_u32 v3, v1, s20, s21
	v_lshlrev_b32_e32 v4, 2, v1
	s_mov_b32 s3, 0
.LBB15_16:                              ; =>This Inner Loop Header: Depth=1
	flat_load_b32 v5, v3, s[16:17] scale_offset
	s_wait_xcnt 0x0
	v_dual_add_nc_u32 v1, 64, v1 :: v_dual_add_nc_u32 v3, v3, v2
	s_delay_alu instid0(VALU_DEP_1)
	v_cmp_le_i32_e32 vcc_lo, s13, v1
	s_or_b32 s3, vcc_lo, s3
	s_wait_loadcnt_dscnt 0x0
	ds_store_b32 v4, v5
	v_add_nc_u32_e32 v4, 0x100, v4
	s_and_not1_b32 exec_lo, exec_lo, s3
	s_cbranch_execnz .LBB15_16
.LBB15_17:
	s_or_b32 exec_lo, exec_lo, s19
	s_bfe_u32 s3, ttmp6, 0x40010
	s_bfe_u32 s16, ttmp6, 0x40004
	s_add_co_i32 s3, s3, 1
	s_wait_dscnt 0x0
	s_mul_i32 s3, ttmp7, s3
	s_barrier_signal -1
	s_add_co_i32 s16, s16, s3
	s_cmp_eq_u32 s18, 0
	s_barrier_wait -1
	s_cselect_b32 s16, ttmp7, s16
	s_delay_alu instid0(SALU_CYCLE_1)
	s_cmp_ge_i32 s16, s12
	s_cbranch_scc1 .LBB15_37
; %bb.18:
	s_load_b32 s17, s[0:1], 0x48
	v_dual_lshlrev_b32 v4, 2, v0 :: v_dual_bitop2_b32 v3, 31, v0 bitop3:0x40
	v_mbcnt_lo_u32_b32 v2, -1, 0
	s_wait_xcnt 0x0
	s_lshl_b64 s[0:1], s[10:11], 2
	s_mul_u64 s[10:11], s[6:7], s[14:15]
	s_wait_kmcnt 0x0
	s_add_nc_u64 s[6:7], s[8:9], s[0:1]
	s_lshl_b64 s[8:9], s[10:11], 2
	v_cmp_eq_u32_e64 s0, 0, v3
	v_dual_mov_b32 v6, 0 :: v_dual_lshrrev_b32 v3, 3, v0
	v_cmp_eq_u32_e64 s1, 0, v0
	v_lshl_or_b32 v5, v2, 2, 64
	s_cmp_gt_i32 s13, 1
	s_add_nc_u64 s[4:5], s[4:5], s[8:9]
	s_cselect_b32 s3, -1, 0
	v_mul_lo_u32 v1, v0, s17
	s_lshl_b32 s10, s17, 6
	s_branch .LBB15_20
.LBB15_19:                              ;   in Loop: Header=BB15_20 Depth=1
	s_or_b32 exec_lo, exec_lo, s11
	s_add_co_i32 s16, s16, 64
	s_delay_alu instid0(SALU_CYCLE_1)
	s_cmp_ge_i32 s16, s12
	s_cbranch_scc1 .LBB15_37
.LBB15_20:                              ; =>This Loop Header: Depth=1
                                        ;     Child Loop BB15_22 Depth 2
                                        ;     Child Loop BB15_36 Depth 2
	s_ashr_i32 s17, s16, 31
	v_mov_b32_e32 v7, 0
	s_lshl_b64 s[8:9], s[16:17], 2
	s_delay_alu instid0(SALU_CYCLE_1)
	s_add_nc_u64 s[8:9], s[6:7], s[8:9]
	s_and_saveexec_b32 s11, s2
	s_cbranch_execz .LBB15_24
; %bb.21:                               ;   in Loop: Header=BB15_20 Depth=1
	s_delay_alu instid0(VALU_DEP_2)
	v_dual_mov_b32 v7, 0 :: v_dual_mov_b32 v8, v1
	v_dual_mov_b32 v9, v4 :: v_dual_mov_b32 v10, v0
	s_mov_b32 s14, 0
.LBB15_22:                              ;   Parent Loop BB15_20 Depth=1
                                        ; =>  This Inner Loop Header: Depth=2
	flat_load_b32 v11, v8, s[8:9] scale_offset
	ds_load_b32 v12, v9
	s_wait_xcnt 0x0
	v_dual_add_nc_u32 v10, 64, v10 :: v_dual_add_nc_u32 v8, s10, v8
	v_add_nc_u32_e32 v9, 0x100, v9
	s_delay_alu instid0(VALU_DEP_2)
	v_cmp_le_i32_e32 vcc_lo, s13, v10
	s_or_b32 s14, vcc_lo, s14
	s_wait_loadcnt_dscnt 0x0
	v_fmac_f32_e32 v7, v12, v11
	s_and_not1_b32 exec_lo, exec_lo, s14
	s_cbranch_execnz .LBB15_22
; %bb.23:                               ;   in Loop: Header=BB15_20 Depth=1
	s_or_b32 exec_lo, exec_lo, s14
.LBB15_24:                              ;   in Loop: Header=BB15_20 Depth=1
	s_delay_alu instid0(SALU_CYCLE_1) | instskip(NEXT) | instid1(SALU_CYCLE_1)
	s_or_b32 exec_lo, exec_lo, s11
	s_and_b32 vcc_lo, exec_lo, s3
	s_cbranch_vccz .LBB15_31
; %bb.25:                               ;   in Loop: Header=BB15_20 Depth=1
	v_cmp_ne_u32_e32 vcc_lo, 31, v2
	v_add_co_ci_u32_e64 v8, null, 0, v2, vcc_lo
	v_cmp_gt_u32_e32 vcc_lo, 30, v2
	s_delay_alu instid0(VALU_DEP_2)
	v_lshlrev_b32_e32 v8, 2, v8
	v_cndmask_b32_e64 v9, 0, 2, vcc_lo
	v_cmp_gt_u32_e32 vcc_lo, 28, v2
	ds_bpermute_b32 v8, v8, v7
	v_add_lshl_u32 v9, v9, v2, 2
	v_cndmask_b32_e64 v10, 0, 4, vcc_lo
	v_cmp_gt_u32_e32 vcc_lo, 24, v2
	s_delay_alu instid0(VALU_DEP_2)
	v_add_lshl_u32 v10, v10, v2, 2
	s_wait_dscnt 0x0
	v_add_f32_e32 v8, v7, v8
	ds_bpermute_b32 v9, v9, v8
	s_wait_dscnt 0x0
	v_add_f32_e32 v8, v8, v9
	ds_bpermute_b32 v9, v10, v8
	v_cndmask_b32_e64 v10, 0, 8, vcc_lo
	s_wait_dscnt 0x0
	v_add_f32_e32 v8, v8, v9
	s_delay_alu instid0(VALU_DEP_2)
	v_add_lshl_u32 v9, v10, v2, 2
	ds_bpermute_b32 v9, v9, v8
	s_wait_dscnt 0x0
	v_add_f32_e32 v8, v8, v9
	ds_bpermute_b32 v9, v5, v8
	s_wait_dscnt 0x0
	v_add_f32_e32 v9, v8, v9
	s_and_saveexec_b32 s11, s0
; %bb.26:                               ;   in Loop: Header=BB15_20 Depth=1
	ds_store_b32 v3, v9 offset:8192
; %bb.27:                               ;   in Loop: Header=BB15_20 Depth=1
	s_or_b32 exec_lo, exec_lo, s11
	s_mov_b32 s14, 0
	s_mov_b32 s11, 0
	s_wait_dscnt 0x0
	s_barrier_signal -1
	s_barrier_wait -1
                                        ; implicit-def: $vgpr8
	s_and_saveexec_b32 s15, s1
	s_delay_alu instid0(SALU_CYCLE_1)
	s_xor_b32 s15, exec_lo, s15
	s_cbranch_execz .LBB15_29
; %bb.28:                               ;   in Loop: Header=BB15_20 Depth=1
	ds_load_b32 v8, v6 offset:8196
	s_mov_b32 s11, exec_lo
	s_wait_dscnt 0x0
	v_add_f32_e32 v8, v9, v8
.LBB15_29:                              ;   in Loop: Header=BB15_20 Depth=1
	s_or_b32 exec_lo, exec_lo, s15
	s_delay_alu instid0(SALU_CYCLE_1)
	s_and_b32 vcc_lo, exec_lo, s14
	s_cbranch_vccnz .LBB15_32
.LBB15_30:                              ;   in Loop: Header=BB15_20 Depth=1
	s_delay_alu instid0(VALU_DEP_1)
	v_mov_b32_e32 v7, v8
	s_and_saveexec_b32 s14, s11
	s_cbranch_execnz .LBB15_33
	s_branch .LBB15_34
.LBB15_31:                              ;   in Loop: Header=BB15_20 Depth=1
	s_mov_b32 s11, 0
                                        ; implicit-def: $vgpr8
	s_cbranch_execz .LBB15_30
.LBB15_32:                              ;   in Loop: Header=BB15_20 Depth=1
	s_and_not1_b32 s11, s11, exec_lo
	s_and_b32 s14, s1, exec_lo
	s_delay_alu instid0(SALU_CYCLE_1) | instskip(NEXT) | instid1(SALU_CYCLE_1)
	s_or_b32 s11, s11, s14
	s_and_saveexec_b32 s14, s11
.LBB15_33:                              ;   in Loop: Header=BB15_20 Depth=1
	ds_store_b32 v6, v7 offset:8192
.LBB15_34:                              ;   in Loop: Header=BB15_20 Depth=1
	s_or_b32 exec_lo, exec_lo, s14
	s_wait_dscnt 0x0
	s_barrier_signal -1
	s_barrier_wait -1
	s_and_saveexec_b32 s11, s2
	s_cbranch_execz .LBB15_19
; %bb.35:                               ;   in Loop: Header=BB15_20 Depth=1
	global_load_b32 v7, v6, s[4:5]
	ds_load_b32 v9, v6 offset:8192
	s_mov_b32 s14, 0
	v_mov_b32_e32 v8, v1
	s_wait_loadcnt 0x0
	v_xor_b32_e32 v10, 0x80000000, v7
	s_wait_dscnt 0x0
	s_delay_alu instid0(VALU_DEP_1)
	v_dual_mov_b32 v7, v4 :: v_dual_mul_f32 v9, v9, v10
	v_mov_b32_e32 v10, v0
.LBB15_36:                              ;   Parent Loop BB15_20 Depth=1
                                        ; =>  This Inner Loop Header: Depth=2
	flat_load_b32 v11, v8, s[8:9] scale_offset
	ds_load_b32 v12, v7
	v_add_nc_u32_e32 v10, 64, v10
	v_add_nc_u32_e32 v7, 0x100, v7
	s_wait_loadcnt_dscnt 0x0
	v_fmac_f32_e32 v11, v9, v12
	s_delay_alu instid0(VALU_DEP_3) | instskip(SKIP_4) | instid1(SALU_CYCLE_1)
	v_cmp_le_i32_e32 vcc_lo, s13, v10
	flat_store_b32 v8, v11, s[8:9] scale_offset
	s_wait_xcnt 0x0
	v_add_nc_u32_e32 v8, s10, v8
	s_or_b32 s14, vcc_lo, s14
	s_and_not1_b32 exec_lo, exec_lo, s14
	s_cbranch_execnz .LBB15_36
	s_branch .LBB15_19
.LBB15_37:
	s_endpgm
	.section	.rodata,"a",@progbits
	.p2align	6, 0x0
	.amdhsa_kernel _ZN9rocsolver6v33100L23larf_right_kernel_smallILi64EfiPKPfEEvT1_S5_T2_lS5_lPKT0_lS6_lS5_l
		.amdhsa_group_segment_fixed_size 8200
		.amdhsa_private_segment_fixed_size 0
		.amdhsa_kernarg_size 88
		.amdhsa_user_sgpr_count 2
		.amdhsa_user_sgpr_dispatch_ptr 0
		.amdhsa_user_sgpr_queue_ptr 0
		.amdhsa_user_sgpr_kernarg_segment_ptr 1
		.amdhsa_user_sgpr_dispatch_id 0
		.amdhsa_user_sgpr_kernarg_preload_length 0
		.amdhsa_user_sgpr_kernarg_preload_offset 0
		.amdhsa_user_sgpr_private_segment_size 0
		.amdhsa_wavefront_size32 1
		.amdhsa_uses_dynamic_stack 0
		.amdhsa_enable_private_segment 0
		.amdhsa_system_sgpr_workgroup_id_x 1
		.amdhsa_system_sgpr_workgroup_id_y 1
		.amdhsa_system_sgpr_workgroup_id_z 0
		.amdhsa_system_sgpr_workgroup_info 0
		.amdhsa_system_vgpr_workitem_id 0
		.amdhsa_next_free_vgpr 81
		.amdhsa_next_free_sgpr 28
		.amdhsa_named_barrier_count 0
		.amdhsa_reserve_vcc 1
		.amdhsa_float_round_mode_32 0
		.amdhsa_float_round_mode_16_64 0
		.amdhsa_float_denorm_mode_32 3
		.amdhsa_float_denorm_mode_16_64 3
		.amdhsa_fp16_overflow 0
		.amdhsa_memory_ordered 1
		.amdhsa_forward_progress 1
		.amdhsa_inst_pref_size 16
		.amdhsa_round_robin_scheduling 0
		.amdhsa_exception_fp_ieee_invalid_op 0
		.amdhsa_exception_fp_denorm_src 0
		.amdhsa_exception_fp_ieee_div_zero 0
		.amdhsa_exception_fp_ieee_overflow 0
		.amdhsa_exception_fp_ieee_underflow 0
		.amdhsa_exception_fp_ieee_inexact 0
		.amdhsa_exception_int_div_zero 0
	.end_amdhsa_kernel
	.section	.text._ZN9rocsolver6v33100L23larf_right_kernel_smallILi64EfiPKPfEEvT1_S5_T2_lS5_lPKT0_lS6_lS5_l,"axG",@progbits,_ZN9rocsolver6v33100L23larf_right_kernel_smallILi64EfiPKPfEEvT1_S5_T2_lS5_lPKT0_lS6_lS5_l,comdat
.Lfunc_end15:
	.size	_ZN9rocsolver6v33100L23larf_right_kernel_smallILi64EfiPKPfEEvT1_S5_T2_lS5_lPKT0_lS6_lS5_l, .Lfunc_end15-_ZN9rocsolver6v33100L23larf_right_kernel_smallILi64EfiPKPfEEvT1_S5_T2_lS5_lPKT0_lS6_lS5_l
                                        ; -- End function
	.set _ZN9rocsolver6v33100L23larf_right_kernel_smallILi64EfiPKPfEEvT1_S5_T2_lS5_lPKT0_lS6_lS5_l.num_vgpr, 13
	.set _ZN9rocsolver6v33100L23larf_right_kernel_smallILi64EfiPKPfEEvT1_S5_T2_lS5_lPKT0_lS6_lS5_l.num_agpr, 0
	.set _ZN9rocsolver6v33100L23larf_right_kernel_smallILi64EfiPKPfEEvT1_S5_T2_lS5_lPKT0_lS6_lS5_l.numbered_sgpr, 28
	.set _ZN9rocsolver6v33100L23larf_right_kernel_smallILi64EfiPKPfEEvT1_S5_T2_lS5_lPKT0_lS6_lS5_l.num_named_barrier, 0
	.set _ZN9rocsolver6v33100L23larf_right_kernel_smallILi64EfiPKPfEEvT1_S5_T2_lS5_lPKT0_lS6_lS5_l.private_seg_size, 0
	.set _ZN9rocsolver6v33100L23larf_right_kernel_smallILi64EfiPKPfEEvT1_S5_T2_lS5_lPKT0_lS6_lS5_l.uses_vcc, 1
	.set _ZN9rocsolver6v33100L23larf_right_kernel_smallILi64EfiPKPfEEvT1_S5_T2_lS5_lPKT0_lS6_lS5_l.uses_flat_scratch, 1
	.set _ZN9rocsolver6v33100L23larf_right_kernel_smallILi64EfiPKPfEEvT1_S5_T2_lS5_lPKT0_lS6_lS5_l.has_dyn_sized_stack, 0
	.set _ZN9rocsolver6v33100L23larf_right_kernel_smallILi64EfiPKPfEEvT1_S5_T2_lS5_lPKT0_lS6_lS5_l.has_recursion, 0
	.set _ZN9rocsolver6v33100L23larf_right_kernel_smallILi64EfiPKPfEEvT1_S5_T2_lS5_lPKT0_lS6_lS5_l.has_indirect_call, 0
	.section	.AMDGPU.csdata,"",@progbits
; Kernel info:
; codeLenInByte = 1988
; TotalNumSgprs: 30
; NumVgprs: 13
; ScratchSize: 0
; MemoryBound: 0
; FloatMode: 240
; IeeeMode: 1
; LDSByteSize: 8200 bytes/workgroup (compile time only)
; SGPRBlocks: 0
; VGPRBlocks: 5
; NumSGPRsForWavesPerEU: 30
; NumVGPRsForWavesPerEU: 81
; NamedBarCnt: 0
; Occupancy: 10
; WaveLimiterHint : 1
; COMPUTE_PGM_RSRC2:SCRATCH_EN: 0
; COMPUTE_PGM_RSRC2:USER_SGPR: 2
; COMPUTE_PGM_RSRC2:TRAP_HANDLER: 0
; COMPUTE_PGM_RSRC2:TGID_X_EN: 1
; COMPUTE_PGM_RSRC2:TGID_Y_EN: 1
; COMPUTE_PGM_RSRC2:TGID_Z_EN: 0
; COMPUTE_PGM_RSRC2:TIDIG_COMP_CNT: 0
	.section	.text._ZN9rocsolver6v33100L23larf_right_kernel_smallILi128EfiPKPfEEvT1_S5_T2_lS5_lPKT0_lS6_lS5_l,"axG",@progbits,_ZN9rocsolver6v33100L23larf_right_kernel_smallILi128EfiPKPfEEvT1_S5_T2_lS5_lPKT0_lS6_lS5_l,comdat
	.globl	_ZN9rocsolver6v33100L23larf_right_kernel_smallILi128EfiPKPfEEvT1_S5_T2_lS5_lPKT0_lS6_lS5_l ; -- Begin function _ZN9rocsolver6v33100L23larf_right_kernel_smallILi128EfiPKPfEEvT1_S5_T2_lS5_lPKT0_lS6_lS5_l
	.p2align	8
	.type	_ZN9rocsolver6v33100L23larf_right_kernel_smallILi128EfiPKPfEEvT1_S5_T2_lS5_lPKT0_lS6_lS5_l,@function
_ZN9rocsolver6v33100L23larf_right_kernel_smallILi128EfiPKPfEEvT1_S5_T2_lS5_lPKT0_lS6_lS5_l: ; @_ZN9rocsolver6v33100L23larf_right_kernel_smallILi128EfiPKPfEEvT1_S5_T2_lS5_lPKT0_lS6_lS5_l
; %bb.0:
	s_load_b256 s[4:11], s[0:1], 0x28
	s_bfe_u32 s2, ttmp6, 0x4000c
	s_and_b32 s3, ttmp6, 15
	s_add_co_i32 s2, s2, 1
	s_getreg_b32 s18, hwreg(HW_REG_IB_STS2, 6, 4)
	s_mul_i32 s2, ttmp9, s2
	s_load_b64 s[12:13], s[0:1], 0x0
	s_add_co_i32 s3, s3, s2
	s_cmp_eq_u32 s18, 0
	s_cselect_b32 s14, ttmp9, s3
	s_delay_alu instid0(SALU_CYCLE_1) | instskip(NEXT) | instid1(SALU_CYCLE_1)
	s_ashr_i32 s15, s14, 31
	s_lshl_b64 s[16:17], s[14:15], 3
	s_wait_kmcnt 0x0
	s_add_nc_u64 s[2:3], s[8:9], s[16:17]
	s_load_b64 s[8:9], s[2:3], 0x0
	s_wait_xcnt 0x0
	s_mov_b32 s3, 0
	v_cmp_gt_i32_e64 s2, s13, v0
	s_and_saveexec_b32 s19, s2
	s_cbranch_execz .LBB16_17
; %bb.1:
	s_clause 0x1
	s_load_b128 s[24:27], s[0:1], 0x8
	s_load_b32 s20, s[0:1], 0x18
	s_sub_co_i32 s21, 1, s13
	v_xad_u32 v3, v0, -1, s13
                                        ; implicit-def: $vgpr1
                                        ; implicit-def: $vgpr2
	s_wait_kmcnt 0x0
	s_add_nc_u64 s[16:17], s[24:25], s[16:17]
	s_lshl_b64 s[22:23], s[26:27], 2
	s_load_b64 s[16:17], s[16:17], 0x0
	s_mul_i32 s21, s20, s21
	s_cmp_lt_i32 s20, 1
	s_mov_b32 s24, -1
	s_cselect_b32 s21, s21, 0
	s_wait_kmcnt 0x0
	s_add_nc_u64 s[16:17], s[16:17], s[22:23]
	s_mov_b32 s22, exec_lo
	v_cmpx_lt_u32_e32 0xc7f, v3
	s_xor_b32 s22, exec_lo, s22
	s_cbranch_execnz .LBB16_4
; %bb.2:
	s_and_not1_saveexec_b32 s22, s22
	s_cbranch_execnz .LBB16_14
.LBB16_3:
	s_or_b32 exec_lo, exec_lo, s22
	s_delay_alu instid0(SALU_CYCLE_1)
	s_and_b32 exec_lo, exec_lo, s3
	s_cbranch_execnz .LBB16_15
	s_branch .LBB16_17
.LBB16_4:
	s_lshl_b32 s23, s20, 7
	v_mad_u32 v1, v0, s20, s21
	s_sub_co_i32 s3, 0, s23
	s_cmp_lt_i32 s23, 0
	v_lshrrev_b32_e32 v4, 7, v3
	s_cselect_b32 vcc_lo, -1, 0
	s_delay_alu instid0(SALU_CYCLE_1)
	s_and_b32 s25, vcc_lo, exec_lo
	s_cselect_b32 s25, s3, s23
	s_delay_alu instid0(VALU_DEP_1) | instid1(SALU_CYCLE_1)
	v_mul_lo_u32 v2, s25, v4
	s_delay_alu instid0(VALU_DEP_1) | instskip(NEXT) | instid1(VALU_DEP_1)
	v_sub_nc_u32_e32 v3, v1, v2
	v_cmp_gt_i32_e64 s3, v3, v1
	s_delay_alu instid0(VALU_DEP_1) | instskip(SKIP_1) | instid1(VALU_DEP_1)
	v_cndmask_b32_e64 v3, 0, 1, s3
	v_add_nc_u32_e32 v2, v1, v2
	v_cmp_lt_i32_e64 s3, v2, v1
	v_mul_hi_u32 v2, s25, v4
	s_delay_alu instid0(VALU_DEP_2) | instskip(NEXT) | instid1(VALU_DEP_1)
	v_cndmask_b32_e64 v1, 0, 1, s3
	v_cndmask_b32_e32 v1, v1, v3, vcc_lo
	s_delay_alu instid0(VALU_DEP_3) | instskip(NEXT) | instid1(VALU_DEP_2)
	v_cmp_eq_u32_e64 s3, 0, v2
	v_and_b32_e32 v1, 1, v1
	s_delay_alu instid0(VALU_DEP_1) | instskip(SKIP_2) | instid1(SALU_CYCLE_1)
	v_cmp_eq_u32_e32 vcc_lo, 1, v1
	v_mov_b32_e32 v1, v0
	s_xor_b32 s25, vcc_lo, -1
	s_and_b32 s25, s25, s3
	s_delay_alu instid0(SALU_CYCLE_1)
	s_and_saveexec_b32 s3, s25
	s_cbranch_execz .LBB16_13
; %bb.5:
	v_dual_add_nc_u32 v2, -1, v4 :: v_dual_mov_b32 v8, 0
	v_or_b32_e32 v1, 0x80, v0
	s_delay_alu instid0(VALU_DEP_2) | instskip(SKIP_1) | instid1(VALU_DEP_2)
	v_lshrrev_b32_e32 v3, 1, v2
	v_cmp_lt_u32_e32 vcc_lo, 5, v2
	v_add_nc_u32_e32 v5, 1, v3
	s_delay_alu instid0(VALU_DEP_4)
	v_mov_b64_e32 v[2:3], v[0:1]
	s_and_saveexec_b32 s24, vcc_lo
	s_cbranch_execz .LBB16_9
; %bb.6:
	v_mov_b64_e32 v[2:3], v[0:1]
	v_dual_lshlrev_b32 v7, 2, v0 :: v_dual_bitop2_b32 v6, -4, v5 bitop3:0x40
	s_mov_b32 s25, 0
	s_mov_b32 s26, 0
.LBB16_7:                               ; =>This Inner Loop Header: Depth=1
	s_delay_alu instid0(VALU_DEP_2) | instskip(NEXT) | instid1(VALU_DEP_3)
	v_mad_u32 v1, v2, s20, s21
	v_mad_u32 v8, v3, s20, s21
	s_add_co_i32 s26, s26, 8
	v_add_nc_u32_e32 v6, -4, v6
	s_clause 0x1
	flat_load_b32 v9, v1, s[16:17] scale_offset
	flat_load_b32 v10, v8, s[16:17] scale_offset
	s_wait_xcnt 0x1
	v_add_nc_u32_e32 v1, 0x100, v2
	s_wait_xcnt 0x0
	v_add_nc_u32_e32 v8, 0x100, v3
	v_cmp_eq_u32_e32 vcc_lo, 0, v6
	s_delay_alu instid0(VALU_DEP_3) | instskip(NEXT) | instid1(VALU_DEP_3)
	v_mad_u32 v1, v1, s20, s21
	v_mad_u32 v8, v8, s20, s21
	s_or_b32 s25, vcc_lo, s25
	s_wait_loadcnt_dscnt 0x0
	ds_store_2addr_stride64_b32 v7, v9, v10 offset1:2
	s_clause 0x1
	flat_load_b32 v9, v1, s[16:17] scale_offset
	flat_load_b32 v10, v8, s[16:17] scale_offset
	s_wait_xcnt 0x1
	v_add_nc_u32_e32 v1, 0x200, v2
	s_wait_xcnt 0x0
	v_add_nc_u32_e32 v8, 0x200, v3
	s_delay_alu instid0(VALU_DEP_2) | instskip(NEXT) | instid1(VALU_DEP_2)
	v_mad_u32 v1, v1, s20, s21
	v_mad_u32 v8, v8, s20, s21
	s_wait_loadcnt_dscnt 0x0
	ds_store_2addr_stride64_b32 v7, v9, v10 offset0:4 offset1:6
	s_clause 0x1
	flat_load_b32 v9, v1, s[16:17] scale_offset
	flat_load_b32 v10, v8, s[16:17] scale_offset
	s_wait_xcnt 0x1
	v_add_nc_u32_e32 v1, 0x300, v2
	s_wait_xcnt 0x0
	v_add_nc_u32_e32 v8, 0x300, v3
	v_add_nc_u32_e32 v3, 0x400, v3
	;; [unrolled: 1-line block ×3, first 2 shown]
	v_mad_u32 v1, v1, s20, s21
	s_delay_alu instid0(VALU_DEP_4)
	v_mad_u32 v8, v8, s20, s21
	s_wait_loadcnt_dscnt 0x0
	ds_store_2addr_stride64_b32 v7, v9, v10 offset0:8 offset1:10
	s_clause 0x1
	flat_load_b32 v9, v1, s[16:17] scale_offset
	flat_load_b32 v10, v8, s[16:17] scale_offset
	s_wait_xcnt 0x0
	v_mov_b32_e32 v8, s26
	s_wait_loadcnt_dscnt 0x0
	ds_store_2addr_stride64_b32 v7, v9, v10 offset0:12 offset1:14
	v_add_nc_u32_e32 v7, 0x1000, v7
	s_and_not1_b32 exec_lo, exec_lo, s25
	s_cbranch_execnz .LBB16_7
; %bb.8:
	s_or_b32 exec_lo, exec_lo, s25
.LBB16_9:
	s_delay_alu instid0(SALU_CYCLE_1) | instskip(SKIP_3) | instid1(VALU_DEP_1)
	s_or_b32 exec_lo, exec_lo, s24
	v_and_b32_e32 v1, 3, v5
	s_mov_b32 s25, 0
	s_mov_b32 s24, exec_lo
	v_cmpx_ne_u32_e32 0, v1
	s_cbranch_execz .LBB16_12
; %bb.10:
	v_lshlrev_b32_e32 v5, 2, v0
	s_delay_alu instid0(VALU_DEP_1)
	v_lshl_or_b32 v5, v8, 9, v5
.LBB16_11:                              ; =>This Inner Loop Header: Depth=1
	v_mad_u32 v6, v2, s20, s21
	v_mad_u32 v7, v3, s20, s21
	v_add_nc_u32_e32 v1, -1, v1
	v_add_nc_u32_e32 v3, 0x100, v3
	v_add_nc_u32_e32 v2, 0x100, v2
	s_clause 0x1
	flat_load_b32 v8, v6, s[16:17] scale_offset
	flat_load_b32 v9, v7, s[16:17] scale_offset
	v_cmp_eq_u32_e32 vcc_lo, 0, v1
	s_or_b32 s25, vcc_lo, s25
	s_wait_loadcnt_dscnt 0x0
	ds_store_2addr_stride64_b32 v5, v8, v9 offset1:2
	v_add_nc_u32_e32 v5, 0x400, v5
	s_and_not1_b32 exec_lo, exec_lo, s25
	s_cbranch_execnz .LBB16_11
.LBB16_12:
	s_or_b32 exec_lo, exec_lo, s24
	v_add_nc_u32_e32 v1, 1, v4
	s_delay_alu instid0(VALU_DEP_1) | instskip(NEXT) | instid1(VALU_DEP_1)
	v_and_b32_e32 v2, 0x3fffffe, v1
	v_cmp_ne_u32_e32 vcc_lo, v1, v2
	v_lshl_or_b32 v1, v2, 7, v0
	s_or_not1_b32 s24, vcc_lo, exec_lo
.LBB16_13:
	s_or_b32 exec_lo, exec_lo, s3
	v_mov_b32_e32 v2, s23
	s_and_b32 s3, s24, exec_lo
	s_and_not1_saveexec_b32 s22, s22
	s_cbranch_execz .LBB16_3
.LBB16_14:
	s_lshl_b32 s23, s20, 7
	s_or_b32 s3, s3, exec_lo
	v_dual_mov_b32 v2, s23 :: v_dual_mov_b32 v1, v0
	s_or_b32 exec_lo, exec_lo, s22
	s_delay_alu instid0(SALU_CYCLE_1)
	s_and_b32 exec_lo, exec_lo, s3
	s_cbranch_execz .LBB16_17
.LBB16_15:
	s_delay_alu instid0(VALU_DEP_1)
	v_mad_u32 v3, v1, s20, s21
	v_lshlrev_b32_e32 v4, 2, v1
	s_mov_b32 s3, 0
.LBB16_16:                              ; =>This Inner Loop Header: Depth=1
	flat_load_b32 v5, v3, s[16:17] scale_offset
	v_add_nc_u32_e32 v1, 0x80, v1
	s_wait_xcnt 0x0
	v_add_nc_u32_e32 v3, v3, v2
	s_delay_alu instid0(VALU_DEP_2)
	v_cmp_le_i32_e32 vcc_lo, s13, v1
	s_or_b32 s3, vcc_lo, s3
	s_wait_loadcnt_dscnt 0x0
	ds_store_b32 v4, v5
	v_add_nc_u32_e32 v4, 0x200, v4
	s_and_not1_b32 exec_lo, exec_lo, s3
	s_cbranch_execnz .LBB16_16
.LBB16_17:
	s_or_b32 exec_lo, exec_lo, s19
	s_bfe_u32 s3, ttmp6, 0x40010
	s_bfe_u32 s16, ttmp6, 0x40004
	s_add_co_i32 s3, s3, 1
	s_wait_dscnt 0x0
	s_mul_i32 s3, ttmp7, s3
	s_barrier_signal -1
	s_add_co_i32 s16, s16, s3
	s_cmp_eq_u32 s18, 0
	s_barrier_wait -1
	s_cselect_b32 s16, ttmp7, s16
	s_delay_alu instid0(SALU_CYCLE_1)
	s_cmp_ge_i32 s16, s12
	s_cbranch_scc1 .LBB16_37
; %bb.18:
	s_load_b32 s17, s[0:1], 0x48
	v_dual_lshrrev_b32 v3, 3, v0 :: v_dual_bitop2_b32 v1, 31, v0 bitop3:0x40
	s_wait_xcnt 0x0
	s_lshl_b64 s[0:1], s[10:11], 2
	s_mul_u64 s[10:11], s[6:7], s[14:15]
	s_wait_kmcnt 0x0
	s_add_nc_u64 s[6:7], s[8:9], s[0:1]
	v_cmp_eq_u32_e64 s0, 0, v1
	v_mbcnt_lo_u32_b32 v1, -1, 0
	s_lshl_b64 s[8:9], s[10:11], 2
	v_cmp_eq_u32_e64 s1, 0, v0
	v_dual_mov_b32 v7, 0 :: v_dual_lshlrev_b32 v4, 2, v0
	s_delay_alu instid0(VALU_DEP_3)
	v_lshl_or_b32 v5, v1, 2, 64
	v_mov_b32_e32 v6, 0x2004
	s_cmp_gt_i32 s13, 1
	s_add_nc_u64 s[4:5], s[4:5], s[8:9]
	s_cselect_b32 s3, -1, 0
	v_mul_lo_u32 v2, v0, s17
	s_lshl_b32 s10, s17, 7
	s_branch .LBB16_20
.LBB16_19:                              ;   in Loop: Header=BB16_20 Depth=1
	s_or_b32 exec_lo, exec_lo, s11
	s_add_co_i32 s16, s16, 64
	s_delay_alu instid0(SALU_CYCLE_1)
	s_cmp_ge_i32 s16, s12
	s_cbranch_scc1 .LBB16_37
.LBB16_20:                              ; =>This Loop Header: Depth=1
                                        ;     Child Loop BB16_22 Depth 2
                                        ;     Child Loop BB16_36 Depth 2
	s_ashr_i32 s17, s16, 31
	v_mov_b32_e32 v8, 0
	s_lshl_b64 s[8:9], s[16:17], 2
	s_delay_alu instid0(SALU_CYCLE_1)
	s_add_nc_u64 s[8:9], s[6:7], s[8:9]
	s_and_saveexec_b32 s11, s2
	s_cbranch_execz .LBB16_24
; %bb.21:                               ;   in Loop: Header=BB16_20 Depth=1
	s_delay_alu instid0(VALU_DEP_2)
	v_dual_mov_b32 v8, 0 :: v_dual_mov_b32 v9, v2
	v_dual_mov_b32 v10, v4 :: v_dual_mov_b32 v11, v0
	s_mov_b32 s14, 0
.LBB16_22:                              ;   Parent Loop BB16_20 Depth=1
                                        ; =>  This Inner Loop Header: Depth=2
	flat_load_b32 v12, v9, s[8:9] scale_offset
	ds_load_b32 v13, v10
	v_add_nc_u32_e32 v11, 0x80, v11
	v_add_nc_u32_e32 v10, 0x200, v10
	s_wait_loadcnt_dscnt 0x0
	s_wait_xcnt 0x0
	v_dual_fmac_f32 v8, v13, v12 :: v_dual_add_nc_u32 v9, s10, v9
	v_cmp_le_i32_e32 vcc_lo, s13, v11
	s_or_b32 s14, vcc_lo, s14
	s_delay_alu instid0(SALU_CYCLE_1)
	s_and_not1_b32 exec_lo, exec_lo, s14
	s_cbranch_execnz .LBB16_22
; %bb.23:                               ;   in Loop: Header=BB16_20 Depth=1
	s_or_b32 exec_lo, exec_lo, s14
.LBB16_24:                              ;   in Loop: Header=BB16_20 Depth=1
	s_delay_alu instid0(SALU_CYCLE_1) | instskip(NEXT) | instid1(SALU_CYCLE_1)
	s_or_b32 exec_lo, exec_lo, s11
	s_and_b32 vcc_lo, exec_lo, s3
	s_cbranch_vccz .LBB16_31
; %bb.25:                               ;   in Loop: Header=BB16_20 Depth=1
	v_cmp_ne_u32_e32 vcc_lo, 31, v1
	v_add_co_ci_u32_e64 v9, null, 0, v1, vcc_lo
	v_cmp_gt_u32_e32 vcc_lo, 30, v1
	s_delay_alu instid0(VALU_DEP_2)
	v_lshlrev_b32_e32 v9, 2, v9
	v_cndmask_b32_e64 v10, 0, 2, vcc_lo
	v_cmp_gt_u32_e32 vcc_lo, 28, v1
	ds_bpermute_b32 v9, v9, v8
	v_add_lshl_u32 v10, v10, v1, 2
	v_cndmask_b32_e64 v11, 0, 4, vcc_lo
	v_cmp_gt_u32_e32 vcc_lo, 24, v1
	s_delay_alu instid0(VALU_DEP_2)
	v_add_lshl_u32 v11, v11, v1, 2
	s_wait_dscnt 0x0
	v_add_f32_e32 v9, v8, v9
	ds_bpermute_b32 v10, v10, v9
	s_wait_dscnt 0x0
	v_add_f32_e32 v9, v9, v10
	ds_bpermute_b32 v10, v11, v9
	v_cndmask_b32_e64 v11, 0, 8, vcc_lo
	s_wait_dscnt 0x0
	v_add_f32_e32 v9, v9, v10
	s_delay_alu instid0(VALU_DEP_2)
	v_add_lshl_u32 v10, v11, v1, 2
	ds_bpermute_b32 v10, v10, v9
	s_wait_dscnt 0x0
	v_add_f32_e32 v9, v9, v10
	ds_bpermute_b32 v10, v5, v9
	s_wait_dscnt 0x0
	v_add_f32_e32 v10, v9, v10
	s_and_saveexec_b32 s11, s0
; %bb.26:                               ;   in Loop: Header=BB16_20 Depth=1
	ds_store_b32 v3, v10 offset:8192
; %bb.27:                               ;   in Loop: Header=BB16_20 Depth=1
	s_or_b32 exec_lo, exec_lo, s11
	s_mov_b32 s14, 0
	s_mov_b32 s11, 0
	s_wait_dscnt 0x0
	s_barrier_signal -1
	s_barrier_wait -1
                                        ; implicit-def: $vgpr9
	s_and_saveexec_b32 s15, s1
	s_delay_alu instid0(SALU_CYCLE_1)
	s_xor_b32 s15, exec_lo, s15
	s_cbranch_execz .LBB16_29
; %bb.28:                               ;   in Loop: Header=BB16_20 Depth=1
	ds_load_2addr_b32 v[12:13], v6 offset1:1
	ds_load_b32 v9, v7 offset:8204
	s_mov_b32 s11, exec_lo
	s_wait_dscnt 0x1
	v_add_f32_e32 v10, v10, v12
	s_delay_alu instid0(VALU_DEP_1) | instskip(SKIP_1) | instid1(VALU_DEP_1)
	v_add_f32_e32 v10, v10, v13
	s_wait_dscnt 0x0
	v_add_f32_e32 v9, v10, v9
.LBB16_29:                              ;   in Loop: Header=BB16_20 Depth=1
	s_or_b32 exec_lo, exec_lo, s15
	s_delay_alu instid0(SALU_CYCLE_1)
	s_and_b32 vcc_lo, exec_lo, s14
	s_cbranch_vccnz .LBB16_32
.LBB16_30:                              ;   in Loop: Header=BB16_20 Depth=1
	s_delay_alu instid0(VALU_DEP_1)
	v_mov_b32_e32 v8, v9
	s_and_saveexec_b32 s14, s11
	s_cbranch_execnz .LBB16_33
	s_branch .LBB16_34
.LBB16_31:                              ;   in Loop: Header=BB16_20 Depth=1
	s_mov_b32 s11, 0
                                        ; implicit-def: $vgpr9
	s_cbranch_execz .LBB16_30
.LBB16_32:                              ;   in Loop: Header=BB16_20 Depth=1
	s_and_not1_b32 s11, s11, exec_lo
	s_and_b32 s14, s1, exec_lo
	s_delay_alu instid0(SALU_CYCLE_1) | instskip(NEXT) | instid1(SALU_CYCLE_1)
	s_or_b32 s11, s11, s14
	s_and_saveexec_b32 s14, s11
.LBB16_33:                              ;   in Loop: Header=BB16_20 Depth=1
	ds_store_b32 v7, v8 offset:8192
.LBB16_34:                              ;   in Loop: Header=BB16_20 Depth=1
	s_or_b32 exec_lo, exec_lo, s14
	s_wait_dscnt 0x0
	s_barrier_signal -1
	s_barrier_wait -1
	s_and_saveexec_b32 s11, s2
	s_cbranch_execz .LBB16_19
; %bb.35:                               ;   in Loop: Header=BB16_20 Depth=1
	global_load_b32 v8, v7, s[4:5]
	ds_load_b32 v10, v7 offset:8192
	s_mov_b32 s14, 0
	v_mov_b32_e32 v9, v2
	s_wait_loadcnt 0x0
	v_xor_b32_e32 v11, 0x80000000, v8
	s_wait_dscnt 0x0
	s_delay_alu instid0(VALU_DEP_1)
	v_dual_mov_b32 v8, v4 :: v_dual_mul_f32 v10, v10, v11
	v_mov_b32_e32 v11, v0
.LBB16_36:                              ;   Parent Loop BB16_20 Depth=1
                                        ; =>  This Inner Loop Header: Depth=2
	flat_load_b32 v12, v9, s[8:9] scale_offset
	ds_load_b32 v13, v8
	v_add_nc_u32_e32 v11, 0x80, v11
	v_add_nc_u32_e32 v8, 0x200, v8
	s_wait_loadcnt_dscnt 0x0
	v_fmac_f32_e32 v12, v10, v13
	s_delay_alu instid0(VALU_DEP_3) | instskip(SKIP_4) | instid1(SALU_CYCLE_1)
	v_cmp_le_i32_e32 vcc_lo, s13, v11
	flat_store_b32 v9, v12, s[8:9] scale_offset
	s_wait_xcnt 0x0
	v_add_nc_u32_e32 v9, s10, v9
	s_or_b32 s14, vcc_lo, s14
	s_and_not1_b32 exec_lo, exec_lo, s14
	s_cbranch_execnz .LBB16_36
	s_branch .LBB16_19
.LBB16_37:
	s_endpgm
	.section	.rodata,"a",@progbits
	.p2align	6, 0x0
	.amdhsa_kernel _ZN9rocsolver6v33100L23larf_right_kernel_smallILi128EfiPKPfEEvT1_S5_T2_lS5_lPKT0_lS6_lS5_l
		.amdhsa_group_segment_fixed_size 8208
		.amdhsa_private_segment_fixed_size 0
		.amdhsa_kernarg_size 88
		.amdhsa_user_sgpr_count 2
		.amdhsa_user_sgpr_dispatch_ptr 0
		.amdhsa_user_sgpr_queue_ptr 0
		.amdhsa_user_sgpr_kernarg_segment_ptr 1
		.amdhsa_user_sgpr_dispatch_id 0
		.amdhsa_user_sgpr_kernarg_preload_length 0
		.amdhsa_user_sgpr_kernarg_preload_offset 0
		.amdhsa_user_sgpr_private_segment_size 0
		.amdhsa_wavefront_size32 1
		.amdhsa_uses_dynamic_stack 0
		.amdhsa_enable_private_segment 0
		.amdhsa_system_sgpr_workgroup_id_x 1
		.amdhsa_system_sgpr_workgroup_id_y 1
		.amdhsa_system_sgpr_workgroup_id_z 0
		.amdhsa_system_sgpr_workgroup_info 0
		.amdhsa_system_vgpr_workitem_id 0
		.amdhsa_next_free_vgpr 14
		.amdhsa_next_free_sgpr 28
		.amdhsa_named_barrier_count 0
		.amdhsa_reserve_vcc 1
		.amdhsa_float_round_mode_32 0
		.amdhsa_float_round_mode_16_64 0
		.amdhsa_float_denorm_mode_32 3
		.amdhsa_float_denorm_mode_16_64 3
		.amdhsa_fp16_overflow 0
		.amdhsa_memory_ordered 1
		.amdhsa_forward_progress 1
		.amdhsa_inst_pref_size 16
		.amdhsa_round_robin_scheduling 0
		.amdhsa_exception_fp_ieee_invalid_op 0
		.amdhsa_exception_fp_denorm_src 0
		.amdhsa_exception_fp_ieee_div_zero 0
		.amdhsa_exception_fp_ieee_overflow 0
		.amdhsa_exception_fp_ieee_underflow 0
		.amdhsa_exception_fp_ieee_inexact 0
		.amdhsa_exception_int_div_zero 0
	.end_amdhsa_kernel
	.section	.text._ZN9rocsolver6v33100L23larf_right_kernel_smallILi128EfiPKPfEEvT1_S5_T2_lS5_lPKT0_lS6_lS5_l,"axG",@progbits,_ZN9rocsolver6v33100L23larf_right_kernel_smallILi128EfiPKPfEEvT1_S5_T2_lS5_lPKT0_lS6_lS5_l,comdat
.Lfunc_end16:
	.size	_ZN9rocsolver6v33100L23larf_right_kernel_smallILi128EfiPKPfEEvT1_S5_T2_lS5_lPKT0_lS6_lS5_l, .Lfunc_end16-_ZN9rocsolver6v33100L23larf_right_kernel_smallILi128EfiPKPfEEvT1_S5_T2_lS5_lPKT0_lS6_lS5_l
                                        ; -- End function
	.set _ZN9rocsolver6v33100L23larf_right_kernel_smallILi128EfiPKPfEEvT1_S5_T2_lS5_lPKT0_lS6_lS5_l.num_vgpr, 14
	.set _ZN9rocsolver6v33100L23larf_right_kernel_smallILi128EfiPKPfEEvT1_S5_T2_lS5_lPKT0_lS6_lS5_l.num_agpr, 0
	.set _ZN9rocsolver6v33100L23larf_right_kernel_smallILi128EfiPKPfEEvT1_S5_T2_lS5_lPKT0_lS6_lS5_l.numbered_sgpr, 28
	.set _ZN9rocsolver6v33100L23larf_right_kernel_smallILi128EfiPKPfEEvT1_S5_T2_lS5_lPKT0_lS6_lS5_l.num_named_barrier, 0
	.set _ZN9rocsolver6v33100L23larf_right_kernel_smallILi128EfiPKPfEEvT1_S5_T2_lS5_lPKT0_lS6_lS5_l.private_seg_size, 0
	.set _ZN9rocsolver6v33100L23larf_right_kernel_smallILi128EfiPKPfEEvT1_S5_T2_lS5_lPKT0_lS6_lS5_l.uses_vcc, 1
	.set _ZN9rocsolver6v33100L23larf_right_kernel_smallILi128EfiPKPfEEvT1_S5_T2_lS5_lPKT0_lS6_lS5_l.uses_flat_scratch, 1
	.set _ZN9rocsolver6v33100L23larf_right_kernel_smallILi128EfiPKPfEEvT1_S5_T2_lS5_lPKT0_lS6_lS5_l.has_dyn_sized_stack, 0
	.set _ZN9rocsolver6v33100L23larf_right_kernel_smallILi128EfiPKPfEEvT1_S5_T2_lS5_lPKT0_lS6_lS5_l.has_recursion, 0
	.set _ZN9rocsolver6v33100L23larf_right_kernel_smallILi128EfiPKPfEEvT1_S5_T2_lS5_lPKT0_lS6_lS5_l.has_indirect_call, 0
	.section	.AMDGPU.csdata,"",@progbits
; Kernel info:
; codeLenInByte = 2028
; TotalNumSgprs: 30
; NumVgprs: 14
; ScratchSize: 0
; MemoryBound: 0
; FloatMode: 240
; IeeeMode: 1
; LDSByteSize: 8208 bytes/workgroup (compile time only)
; SGPRBlocks: 0
; VGPRBlocks: 0
; NumSGPRsForWavesPerEU: 30
; NumVGPRsForWavesPerEU: 14
; NamedBarCnt: 0
; Occupancy: 16
; WaveLimiterHint : 1
; COMPUTE_PGM_RSRC2:SCRATCH_EN: 0
; COMPUTE_PGM_RSRC2:USER_SGPR: 2
; COMPUTE_PGM_RSRC2:TRAP_HANDLER: 0
; COMPUTE_PGM_RSRC2:TGID_X_EN: 1
; COMPUTE_PGM_RSRC2:TGID_Y_EN: 1
; COMPUTE_PGM_RSRC2:TGID_Z_EN: 0
; COMPUTE_PGM_RSRC2:TIDIG_COMP_CNT: 0
	.section	.text._ZN9rocsolver6v33100L23larf_right_kernel_smallILi256EfiPKPfEEvT1_S5_T2_lS5_lPKT0_lS6_lS5_l,"axG",@progbits,_ZN9rocsolver6v33100L23larf_right_kernel_smallILi256EfiPKPfEEvT1_S5_T2_lS5_lPKT0_lS6_lS5_l,comdat
	.globl	_ZN9rocsolver6v33100L23larf_right_kernel_smallILi256EfiPKPfEEvT1_S5_T2_lS5_lPKT0_lS6_lS5_l ; -- Begin function _ZN9rocsolver6v33100L23larf_right_kernel_smallILi256EfiPKPfEEvT1_S5_T2_lS5_lPKT0_lS6_lS5_l
	.p2align	8
	.type	_ZN9rocsolver6v33100L23larf_right_kernel_smallILi256EfiPKPfEEvT1_S5_T2_lS5_lPKT0_lS6_lS5_l,@function
_ZN9rocsolver6v33100L23larf_right_kernel_smallILi256EfiPKPfEEvT1_S5_T2_lS5_lPKT0_lS6_lS5_l: ; @_ZN9rocsolver6v33100L23larf_right_kernel_smallILi256EfiPKPfEEvT1_S5_T2_lS5_lPKT0_lS6_lS5_l
; %bb.0:
	s_load_b256 s[4:11], s[0:1], 0x28
	s_bfe_u32 s2, ttmp6, 0x4000c
	s_and_b32 s3, ttmp6, 15
	s_add_co_i32 s2, s2, 1
	s_getreg_b32 s18, hwreg(HW_REG_IB_STS2, 6, 4)
	s_mul_i32 s2, ttmp9, s2
	s_load_b64 s[12:13], s[0:1], 0x0
	s_add_co_i32 s3, s3, s2
	s_cmp_eq_u32 s18, 0
	s_cselect_b32 s14, ttmp9, s3
	s_delay_alu instid0(SALU_CYCLE_1) | instskip(NEXT) | instid1(SALU_CYCLE_1)
	s_ashr_i32 s15, s14, 31
	s_lshl_b64 s[16:17], s[14:15], 3
	s_wait_kmcnt 0x0
	s_add_nc_u64 s[2:3], s[8:9], s[16:17]
	s_load_b64 s[8:9], s[2:3], 0x0
	s_wait_xcnt 0x0
	s_mov_b32 s3, 0
	v_cmp_gt_i32_e64 s2, s13, v0
	s_and_saveexec_b32 s19, s2
	s_cbranch_execz .LBB17_17
; %bb.1:
	s_clause 0x1
	s_load_b128 s[24:27], s[0:1], 0x8
	s_load_b32 s20, s[0:1], 0x18
	s_sub_co_i32 s21, 1, s13
	v_xad_u32 v3, v0, -1, s13
                                        ; implicit-def: $vgpr1
                                        ; implicit-def: $vgpr2
	s_wait_kmcnt 0x0
	s_add_nc_u64 s[16:17], s[24:25], s[16:17]
	s_lshl_b64 s[22:23], s[26:27], 2
	s_load_b64 s[16:17], s[16:17], 0x0
	s_mul_i32 s21, s20, s21
	s_cmp_lt_i32 s20, 1
	s_mov_b32 s24, -1
	s_cselect_b32 s21, s21, 0
	s_wait_kmcnt 0x0
	s_add_nc_u64 s[16:17], s[16:17], s[22:23]
	s_mov_b32 s22, exec_lo
	v_cmpx_lt_u32_e32 0x18ff, v3
	s_xor_b32 s22, exec_lo, s22
	s_cbranch_execnz .LBB17_4
; %bb.2:
	s_and_not1_saveexec_b32 s22, s22
	s_cbranch_execnz .LBB17_14
.LBB17_3:
	s_or_b32 exec_lo, exec_lo, s22
	s_delay_alu instid0(SALU_CYCLE_1)
	s_and_b32 exec_lo, exec_lo, s3
	s_cbranch_execnz .LBB17_15
	s_branch .LBB17_17
.LBB17_4:
	s_lshl_b32 s23, s20, 8
	v_mad_u32 v1, v0, s20, s21
	s_sub_co_i32 s3, 0, s23
	s_cmp_lt_i32 s23, 0
	v_lshrrev_b32_e32 v4, 8, v3
	s_cselect_b32 vcc_lo, -1, 0
	s_delay_alu instid0(SALU_CYCLE_1)
	s_and_b32 s25, vcc_lo, exec_lo
	s_cselect_b32 s25, s3, s23
	s_delay_alu instid0(VALU_DEP_1) | instid1(SALU_CYCLE_1)
	v_mul_lo_u32 v2, s25, v4
	s_delay_alu instid0(VALU_DEP_1) | instskip(NEXT) | instid1(VALU_DEP_1)
	v_sub_nc_u32_e32 v3, v1, v2
	v_cmp_gt_i32_e64 s3, v3, v1
	s_delay_alu instid0(VALU_DEP_1) | instskip(SKIP_1) | instid1(VALU_DEP_1)
	v_cndmask_b32_e64 v3, 0, 1, s3
	v_add_nc_u32_e32 v2, v1, v2
	v_cmp_lt_i32_e64 s3, v2, v1
	v_mul_hi_u32 v2, s25, v4
	s_delay_alu instid0(VALU_DEP_2) | instskip(NEXT) | instid1(VALU_DEP_1)
	v_cndmask_b32_e64 v1, 0, 1, s3
	v_cndmask_b32_e32 v1, v1, v3, vcc_lo
	s_delay_alu instid0(VALU_DEP_3) | instskip(NEXT) | instid1(VALU_DEP_2)
	v_cmp_eq_u32_e64 s3, 0, v2
	v_and_b32_e32 v1, 1, v1
	s_delay_alu instid0(VALU_DEP_1) | instskip(SKIP_2) | instid1(SALU_CYCLE_1)
	v_cmp_eq_u32_e32 vcc_lo, 1, v1
	v_mov_b32_e32 v1, v0
	s_xor_b32 s25, vcc_lo, -1
	s_and_b32 s25, s25, s3
	s_delay_alu instid0(SALU_CYCLE_1)
	s_and_saveexec_b32 s3, s25
	s_cbranch_execz .LBB17_13
; %bb.5:
	v_dual_add_nc_u32 v2, -1, v4 :: v_dual_mov_b32 v8, 0
	v_or_b32_e32 v1, 0x100, v0
	s_delay_alu instid0(VALU_DEP_2) | instskip(SKIP_1) | instid1(VALU_DEP_2)
	v_lshrrev_b32_e32 v3, 1, v2
	v_cmp_lt_u32_e32 vcc_lo, 5, v2
	v_add_nc_u32_e32 v5, 1, v3
	s_delay_alu instid0(VALU_DEP_4)
	v_mov_b64_e32 v[2:3], v[0:1]
	s_and_saveexec_b32 s24, vcc_lo
	s_cbranch_execz .LBB17_9
; %bb.6:
	v_mov_b64_e32 v[2:3], v[0:1]
	v_dual_lshlrev_b32 v7, 2, v0 :: v_dual_bitop2_b32 v6, -4, v5 bitop3:0x40
	s_mov_b32 s25, 0
	s_mov_b32 s26, 0
.LBB17_7:                               ; =>This Inner Loop Header: Depth=1
	s_delay_alu instid0(VALU_DEP_2) | instskip(NEXT) | instid1(VALU_DEP_3)
	v_mad_u32 v1, v2, s20, s21
	v_mad_u32 v8, v3, s20, s21
	s_add_co_i32 s26, s26, 8
	v_add_nc_u32_e32 v6, -4, v6
	s_clause 0x1
	flat_load_b32 v9, v1, s[16:17] scale_offset
	flat_load_b32 v10, v8, s[16:17] scale_offset
	s_wait_xcnt 0x1
	v_add_nc_u32_e32 v1, 0x200, v2
	s_wait_xcnt 0x0
	v_add_nc_u32_e32 v8, 0x200, v3
	v_cmp_eq_u32_e32 vcc_lo, 0, v6
	s_delay_alu instid0(VALU_DEP_3) | instskip(NEXT) | instid1(VALU_DEP_3)
	v_mad_u32 v1, v1, s20, s21
	v_mad_u32 v8, v8, s20, s21
	s_or_b32 s25, vcc_lo, s25
	s_wait_loadcnt_dscnt 0x0
	ds_store_2addr_stride64_b32 v7, v9, v10 offset1:4
	s_clause 0x1
	flat_load_b32 v9, v1, s[16:17] scale_offset
	flat_load_b32 v10, v8, s[16:17] scale_offset
	s_wait_xcnt 0x1
	v_add_nc_u32_e32 v1, 0x400, v2
	s_wait_xcnt 0x0
	v_add_nc_u32_e32 v8, 0x400, v3
	s_delay_alu instid0(VALU_DEP_2) | instskip(NEXT) | instid1(VALU_DEP_2)
	v_mad_u32 v1, v1, s20, s21
	v_mad_u32 v8, v8, s20, s21
	s_wait_loadcnt_dscnt 0x0
	ds_store_2addr_stride64_b32 v7, v9, v10 offset0:8 offset1:12
	s_clause 0x1
	flat_load_b32 v9, v1, s[16:17] scale_offset
	flat_load_b32 v10, v8, s[16:17] scale_offset
	s_wait_xcnt 0x1
	v_add_nc_u32_e32 v1, 0x600, v2
	s_wait_xcnt 0x0
	v_add_nc_u32_e32 v8, 0x600, v3
	v_add_nc_u32_e32 v3, 0x800, v3
	;; [unrolled: 1-line block ×3, first 2 shown]
	v_mad_u32 v1, v1, s20, s21
	s_delay_alu instid0(VALU_DEP_4)
	v_mad_u32 v8, v8, s20, s21
	s_wait_loadcnt_dscnt 0x0
	ds_store_2addr_stride64_b32 v7, v9, v10 offset0:16 offset1:20
	s_clause 0x1
	flat_load_b32 v9, v1, s[16:17] scale_offset
	flat_load_b32 v10, v8, s[16:17] scale_offset
	s_wait_xcnt 0x0
	v_mov_b32_e32 v8, s26
	s_wait_loadcnt_dscnt 0x0
	ds_store_2addr_stride64_b32 v7, v9, v10 offset0:24 offset1:28
	v_add_nc_u32_e32 v7, 0x2000, v7
	s_and_not1_b32 exec_lo, exec_lo, s25
	s_cbranch_execnz .LBB17_7
; %bb.8:
	s_or_b32 exec_lo, exec_lo, s25
.LBB17_9:
	s_delay_alu instid0(SALU_CYCLE_1) | instskip(SKIP_3) | instid1(VALU_DEP_1)
	s_or_b32 exec_lo, exec_lo, s24
	v_and_b32_e32 v1, 3, v5
	s_mov_b32 s25, 0
	s_mov_b32 s24, exec_lo
	v_cmpx_ne_u32_e32 0, v1
	s_cbranch_execz .LBB17_12
; %bb.10:
	v_lshlrev_b32_e32 v5, 2, v0
	s_delay_alu instid0(VALU_DEP_1)
	v_lshl_or_b32 v5, v8, 10, v5
.LBB17_11:                              ; =>This Inner Loop Header: Depth=1
	v_mad_u32 v6, v2, s20, s21
	v_mad_u32 v7, v3, s20, s21
	v_add_nc_u32_e32 v1, -1, v1
	v_add_nc_u32_e32 v3, 0x200, v3
	v_add_nc_u32_e32 v2, 0x200, v2
	s_clause 0x1
	flat_load_b32 v8, v6, s[16:17] scale_offset
	flat_load_b32 v9, v7, s[16:17] scale_offset
	v_cmp_eq_u32_e32 vcc_lo, 0, v1
	s_or_b32 s25, vcc_lo, s25
	s_wait_loadcnt_dscnt 0x0
	ds_store_2addr_stride64_b32 v5, v8, v9 offset1:4
	v_add_nc_u32_e32 v5, 0x800, v5
	s_and_not1_b32 exec_lo, exec_lo, s25
	s_cbranch_execnz .LBB17_11
.LBB17_12:
	s_or_b32 exec_lo, exec_lo, s24
	v_add_nc_u32_e32 v1, 1, v4
	s_delay_alu instid0(VALU_DEP_1) | instskip(NEXT) | instid1(VALU_DEP_1)
	v_and_b32_e32 v2, 0x1fffffe, v1
	v_cmp_ne_u32_e32 vcc_lo, v1, v2
	v_lshl_or_b32 v1, v2, 8, v0
	s_or_not1_b32 s24, vcc_lo, exec_lo
.LBB17_13:
	s_or_b32 exec_lo, exec_lo, s3
	v_mov_b32_e32 v2, s23
	s_and_b32 s3, s24, exec_lo
	s_and_not1_saveexec_b32 s22, s22
	s_cbranch_execz .LBB17_3
.LBB17_14:
	s_lshl_b32 s23, s20, 8
	s_or_b32 s3, s3, exec_lo
	v_dual_mov_b32 v2, s23 :: v_dual_mov_b32 v1, v0
	s_or_b32 exec_lo, exec_lo, s22
	s_delay_alu instid0(SALU_CYCLE_1)
	s_and_b32 exec_lo, exec_lo, s3
	s_cbranch_execz .LBB17_17
.LBB17_15:
	s_delay_alu instid0(VALU_DEP_1)
	v_mad_u32 v3, v1, s20, s21
	v_lshlrev_b32_e32 v4, 2, v1
	s_mov_b32 s3, 0
.LBB17_16:                              ; =>This Inner Loop Header: Depth=1
	flat_load_b32 v5, v3, s[16:17] scale_offset
	v_add_nc_u32_e32 v1, 0x100, v1
	s_wait_xcnt 0x0
	v_add_nc_u32_e32 v3, v3, v2
	s_delay_alu instid0(VALU_DEP_2)
	v_cmp_le_i32_e32 vcc_lo, s13, v1
	s_or_b32 s3, vcc_lo, s3
	s_wait_loadcnt_dscnt 0x0
	ds_store_b32 v4, v5
	v_add_nc_u32_e32 v4, 0x400, v4
	s_and_not1_b32 exec_lo, exec_lo, s3
	s_cbranch_execnz .LBB17_16
.LBB17_17:
	s_or_b32 exec_lo, exec_lo, s19
	s_bfe_u32 s3, ttmp6, 0x40010
	s_bfe_u32 s16, ttmp6, 0x40004
	s_add_co_i32 s3, s3, 1
	s_wait_dscnt 0x0
	s_mul_i32 s3, ttmp7, s3
	s_barrier_signal -1
	s_add_co_i32 s16, s16, s3
	s_cmp_eq_u32 s18, 0
	s_barrier_wait -1
	s_cselect_b32 s16, ttmp7, s16
	s_delay_alu instid0(SALU_CYCLE_1)
	s_cmp_ge_i32 s16, s12
	s_cbranch_scc1 .LBB17_37
; %bb.18:
	s_load_b32 s17, s[0:1], 0x48
	v_dual_lshrrev_b32 v2, 3, v0 :: v_dual_bitop2_b32 v1, 31, v0 bitop3:0x40
	s_wait_xcnt 0x0
	s_lshl_b64 s[0:1], s[10:11], 2
	s_mul_u64 s[10:11], s[6:7], s[14:15]
	s_wait_kmcnt 0x0
	s_add_nc_u64 s[6:7], s[8:9], s[0:1]
	v_cmp_eq_u32_e64 s0, 0, v1
	v_mbcnt_lo_u32_b32 v1, -1, 0
	s_lshl_b64 s[8:9], s[10:11], 2
	v_cmp_eq_u32_e64 s1, 0, v0
	v_dual_mov_b32 v7, 0x200c :: v_dual_lshlrev_b32 v4, 2, v0
	s_delay_alu instid0(VALU_DEP_3)
	v_lshl_or_b32 v5, v1, 2, 64
	v_dual_mov_b32 v6, 0x2004 :: v_dual_mov_b32 v9, 0
	v_mov_b32_e32 v8, 0x2014
	s_cmp_gt_i32 s13, 1
	s_add_nc_u64 s[4:5], s[4:5], s[8:9]
	s_cselect_b32 s3, -1, 0
	v_mul_lo_u32 v3, v0, s17
	s_lshl_b32 s10, s17, 8
	s_branch .LBB17_20
.LBB17_19:                              ;   in Loop: Header=BB17_20 Depth=1
	s_or_b32 exec_lo, exec_lo, s11
	s_add_co_i32 s16, s16, 64
	s_delay_alu instid0(SALU_CYCLE_1)
	s_cmp_ge_i32 s16, s12
	s_cbranch_scc1 .LBB17_37
.LBB17_20:                              ; =>This Loop Header: Depth=1
                                        ;     Child Loop BB17_22 Depth 2
                                        ;     Child Loop BB17_36 Depth 2
	s_ashr_i32 s17, s16, 31
	v_mov_b32_e32 v10, 0
	s_lshl_b64 s[8:9], s[16:17], 2
	s_delay_alu instid0(SALU_CYCLE_1)
	s_add_nc_u64 s[8:9], s[6:7], s[8:9]
	s_and_saveexec_b32 s11, s2
	s_cbranch_execz .LBB17_24
; %bb.21:                               ;   in Loop: Header=BB17_20 Depth=1
	s_delay_alu instid0(VALU_DEP_2)
	v_dual_mov_b32 v10, 0 :: v_dual_mov_b32 v11, v3
	v_dual_mov_b32 v12, v4 :: v_dual_mov_b32 v13, v0
	s_mov_b32 s14, 0
.LBB17_22:                              ;   Parent Loop BB17_20 Depth=1
                                        ; =>  This Inner Loop Header: Depth=2
	flat_load_b32 v14, v11, s[8:9] scale_offset
	ds_load_b32 v15, v12
	v_add_nc_u32_e32 v13, 0x100, v13
	v_add_nc_u32_e32 v12, 0x400, v12
	s_wait_loadcnt_dscnt 0x0
	s_wait_xcnt 0x0
	v_dual_fmac_f32 v10, v15, v14 :: v_dual_add_nc_u32 v11, s10, v11
	v_cmp_le_i32_e32 vcc_lo, s13, v13
	s_or_b32 s14, vcc_lo, s14
	s_delay_alu instid0(SALU_CYCLE_1)
	s_and_not1_b32 exec_lo, exec_lo, s14
	s_cbranch_execnz .LBB17_22
; %bb.23:                               ;   in Loop: Header=BB17_20 Depth=1
	s_or_b32 exec_lo, exec_lo, s14
.LBB17_24:                              ;   in Loop: Header=BB17_20 Depth=1
	s_delay_alu instid0(SALU_CYCLE_1) | instskip(NEXT) | instid1(SALU_CYCLE_1)
	s_or_b32 exec_lo, exec_lo, s11
	s_and_b32 vcc_lo, exec_lo, s3
	s_cbranch_vccz .LBB17_31
; %bb.25:                               ;   in Loop: Header=BB17_20 Depth=1
	v_cmp_ne_u32_e32 vcc_lo, 31, v1
	v_add_co_ci_u32_e64 v11, null, 0, v1, vcc_lo
	v_cmp_gt_u32_e32 vcc_lo, 30, v1
	s_delay_alu instid0(VALU_DEP_2)
	v_lshlrev_b32_e32 v11, 2, v11
	v_cndmask_b32_e64 v12, 0, 2, vcc_lo
	v_cmp_gt_u32_e32 vcc_lo, 28, v1
	ds_bpermute_b32 v11, v11, v10
	v_add_lshl_u32 v12, v12, v1, 2
	v_cndmask_b32_e64 v13, 0, 4, vcc_lo
	v_cmp_gt_u32_e32 vcc_lo, 24, v1
	s_delay_alu instid0(VALU_DEP_2)
	v_add_lshl_u32 v13, v13, v1, 2
	s_wait_dscnt 0x0
	v_add_f32_e32 v11, v10, v11
	ds_bpermute_b32 v12, v12, v11
	s_wait_dscnt 0x0
	v_add_f32_e32 v11, v11, v12
	ds_bpermute_b32 v12, v13, v11
	v_cndmask_b32_e64 v13, 0, 8, vcc_lo
	s_wait_dscnt 0x0
	v_add_f32_e32 v11, v11, v12
	s_delay_alu instid0(VALU_DEP_2)
	v_add_lshl_u32 v12, v13, v1, 2
	ds_bpermute_b32 v12, v12, v11
	s_wait_dscnt 0x0
	v_add_f32_e32 v11, v11, v12
	ds_bpermute_b32 v12, v5, v11
	s_wait_dscnt 0x0
	v_add_f32_e32 v11, v11, v12
	s_and_saveexec_b32 s11, s0
; %bb.26:                               ;   in Loop: Header=BB17_20 Depth=1
	ds_store_b32 v2, v11 offset:8192
; %bb.27:                               ;   in Loop: Header=BB17_20 Depth=1
	s_or_b32 exec_lo, exec_lo, s11
	s_mov_b32 s14, 0
	s_mov_b32 s11, 0
	s_wait_dscnt 0x0
	s_barrier_signal -1
	s_barrier_wait -1
                                        ; implicit-def: $vgpr12
	s_and_saveexec_b32 s15, s1
	s_delay_alu instid0(SALU_CYCLE_1)
	s_xor_b32 s15, exec_lo, s15
	s_cbranch_execz .LBB17_29
; %bb.28:                               ;   in Loop: Header=BB17_20 Depth=1
	ds_load_2addr_b32 v[12:13], v6 offset1:1
	ds_load_2addr_b32 v[14:15], v7 offset1:1
	;; [unrolled: 1-line block ×3, first 2 shown]
	ds_load_b32 v18, v9 offset:8220
	s_mov_b32 s11, exec_lo
	s_wait_dscnt 0x3
	v_add_f32_e32 v11, v11, v12
	s_delay_alu instid0(VALU_DEP_1) | instskip(SKIP_1) | instid1(VALU_DEP_1)
	v_add_f32_e32 v11, v11, v13
	s_wait_dscnt 0x2
	v_add_f32_e32 v11, v11, v14
	s_delay_alu instid0(VALU_DEP_1) | instskip(SKIP_1) | instid1(VALU_DEP_1)
	v_add_f32_e32 v11, v11, v15
	;; [unrolled: 4-line block ×3, first 2 shown]
	s_wait_dscnt 0x0
	v_add_f32_e32 v12, v11, v18
.LBB17_29:                              ;   in Loop: Header=BB17_20 Depth=1
	s_or_b32 exec_lo, exec_lo, s15
	s_delay_alu instid0(SALU_CYCLE_1)
	s_and_b32 vcc_lo, exec_lo, s14
	s_cbranch_vccnz .LBB17_32
.LBB17_30:                              ;   in Loop: Header=BB17_20 Depth=1
	s_delay_alu instid0(VALU_DEP_1)
	v_mov_b32_e32 v10, v12
	s_and_saveexec_b32 s14, s11
	s_cbranch_execnz .LBB17_33
	s_branch .LBB17_34
.LBB17_31:                              ;   in Loop: Header=BB17_20 Depth=1
	s_mov_b32 s11, 0
                                        ; implicit-def: $vgpr12
	s_cbranch_execz .LBB17_30
.LBB17_32:                              ;   in Loop: Header=BB17_20 Depth=1
	s_and_not1_b32 s11, s11, exec_lo
	s_and_b32 s14, s1, exec_lo
	s_delay_alu instid0(SALU_CYCLE_1) | instskip(NEXT) | instid1(SALU_CYCLE_1)
	s_or_b32 s11, s11, s14
	s_and_saveexec_b32 s14, s11
.LBB17_33:                              ;   in Loop: Header=BB17_20 Depth=1
	ds_store_b32 v9, v10 offset:8192
.LBB17_34:                              ;   in Loop: Header=BB17_20 Depth=1
	s_or_b32 exec_lo, exec_lo, s14
	s_wait_dscnt 0x0
	s_barrier_signal -1
	s_barrier_wait -1
	s_and_saveexec_b32 s11, s2
	s_cbranch_execz .LBB17_19
; %bb.35:                               ;   in Loop: Header=BB17_20 Depth=1
	global_load_b32 v10, v9, s[4:5]
	ds_load_b32 v12, v9 offset:8192
	s_mov_b32 s14, 0
	v_mov_b32_e32 v11, v3
	s_wait_loadcnt 0x0
	v_xor_b32_e32 v13, 0x80000000, v10
	v_mov_b32_e32 v10, v4
	s_wait_dscnt 0x0
	s_delay_alu instid0(VALU_DEP_2)
	v_mul_f32_e32 v12, v12, v13
	v_mov_b32_e32 v13, v0
.LBB17_36:                              ;   Parent Loop BB17_20 Depth=1
                                        ; =>  This Inner Loop Header: Depth=2
	flat_load_b32 v14, v11, s[8:9] scale_offset
	ds_load_b32 v15, v10
	v_add_nc_u32_e32 v13, 0x100, v13
	v_add_nc_u32_e32 v10, 0x400, v10
	s_wait_loadcnt_dscnt 0x0
	v_fmac_f32_e32 v14, v12, v15
	s_delay_alu instid0(VALU_DEP_3) | instskip(SKIP_4) | instid1(SALU_CYCLE_1)
	v_cmp_le_i32_e32 vcc_lo, s13, v13
	flat_store_b32 v11, v14, s[8:9] scale_offset
	s_wait_xcnt 0x0
	v_add_nc_u32_e32 v11, s10, v11
	s_or_b32 s14, vcc_lo, s14
	s_and_not1_b32 exec_lo, exec_lo, s14
	s_cbranch_execnz .LBB17_36
	s_branch .LBB17_19
.LBB17_37:
	s_endpgm
	.section	.rodata,"a",@progbits
	.p2align	6, 0x0
	.amdhsa_kernel _ZN9rocsolver6v33100L23larf_right_kernel_smallILi256EfiPKPfEEvT1_S5_T2_lS5_lPKT0_lS6_lS5_l
		.amdhsa_group_segment_fixed_size 8224
		.amdhsa_private_segment_fixed_size 0
		.amdhsa_kernarg_size 88
		.amdhsa_user_sgpr_count 2
		.amdhsa_user_sgpr_dispatch_ptr 0
		.amdhsa_user_sgpr_queue_ptr 0
		.amdhsa_user_sgpr_kernarg_segment_ptr 1
		.amdhsa_user_sgpr_dispatch_id 0
		.amdhsa_user_sgpr_kernarg_preload_length 0
		.amdhsa_user_sgpr_kernarg_preload_offset 0
		.amdhsa_user_sgpr_private_segment_size 0
		.amdhsa_wavefront_size32 1
		.amdhsa_uses_dynamic_stack 0
		.amdhsa_enable_private_segment 0
		.amdhsa_system_sgpr_workgroup_id_x 1
		.amdhsa_system_sgpr_workgroup_id_y 1
		.amdhsa_system_sgpr_workgroup_id_z 0
		.amdhsa_system_sgpr_workgroup_info 0
		.amdhsa_system_vgpr_workitem_id 0
		.amdhsa_next_free_vgpr 19
		.amdhsa_next_free_sgpr 28
		.amdhsa_named_barrier_count 0
		.amdhsa_reserve_vcc 1
		.amdhsa_float_round_mode_32 0
		.amdhsa_float_round_mode_16_64 0
		.amdhsa_float_denorm_mode_32 3
		.amdhsa_float_denorm_mode_16_64 3
		.amdhsa_fp16_overflow 0
		.amdhsa_memory_ordered 1
		.amdhsa_forward_progress 1
		.amdhsa_inst_pref_size 17
		.amdhsa_round_robin_scheduling 0
		.amdhsa_exception_fp_ieee_invalid_op 0
		.amdhsa_exception_fp_denorm_src 0
		.amdhsa_exception_fp_ieee_div_zero 0
		.amdhsa_exception_fp_ieee_overflow 0
		.amdhsa_exception_fp_ieee_underflow 0
		.amdhsa_exception_fp_ieee_inexact 0
		.amdhsa_exception_int_div_zero 0
	.end_amdhsa_kernel
	.section	.text._ZN9rocsolver6v33100L23larf_right_kernel_smallILi256EfiPKPfEEvT1_S5_T2_lS5_lPKT0_lS6_lS5_l,"axG",@progbits,_ZN9rocsolver6v33100L23larf_right_kernel_smallILi256EfiPKPfEEvT1_S5_T2_lS5_lPKT0_lS6_lS5_l,comdat
.Lfunc_end17:
	.size	_ZN9rocsolver6v33100L23larf_right_kernel_smallILi256EfiPKPfEEvT1_S5_T2_lS5_lPKT0_lS6_lS5_l, .Lfunc_end17-_ZN9rocsolver6v33100L23larf_right_kernel_smallILi256EfiPKPfEEvT1_S5_T2_lS5_lPKT0_lS6_lS5_l
                                        ; -- End function
	.set _ZN9rocsolver6v33100L23larf_right_kernel_smallILi256EfiPKPfEEvT1_S5_T2_lS5_lPKT0_lS6_lS5_l.num_vgpr, 19
	.set _ZN9rocsolver6v33100L23larf_right_kernel_smallILi256EfiPKPfEEvT1_S5_T2_lS5_lPKT0_lS6_lS5_l.num_agpr, 0
	.set _ZN9rocsolver6v33100L23larf_right_kernel_smallILi256EfiPKPfEEvT1_S5_T2_lS5_lPKT0_lS6_lS5_l.numbered_sgpr, 28
	.set _ZN9rocsolver6v33100L23larf_right_kernel_smallILi256EfiPKPfEEvT1_S5_T2_lS5_lPKT0_lS6_lS5_l.num_named_barrier, 0
	.set _ZN9rocsolver6v33100L23larf_right_kernel_smallILi256EfiPKPfEEvT1_S5_T2_lS5_lPKT0_lS6_lS5_l.private_seg_size, 0
	.set _ZN9rocsolver6v33100L23larf_right_kernel_smallILi256EfiPKPfEEvT1_S5_T2_lS5_lPKT0_lS6_lS5_l.uses_vcc, 1
	.set _ZN9rocsolver6v33100L23larf_right_kernel_smallILi256EfiPKPfEEvT1_S5_T2_lS5_lPKT0_lS6_lS5_l.uses_flat_scratch, 1
	.set _ZN9rocsolver6v33100L23larf_right_kernel_smallILi256EfiPKPfEEvT1_S5_T2_lS5_lPKT0_lS6_lS5_l.has_dyn_sized_stack, 0
	.set _ZN9rocsolver6v33100L23larf_right_kernel_smallILi256EfiPKPfEEvT1_S5_T2_lS5_lPKT0_lS6_lS5_l.has_recursion, 0
	.set _ZN9rocsolver6v33100L23larf_right_kernel_smallILi256EfiPKPfEEvT1_S5_T2_lS5_lPKT0_lS6_lS5_l.has_indirect_call, 0
	.section	.AMDGPU.csdata,"",@progbits
; Kernel info:
; codeLenInByte = 2088
; TotalNumSgprs: 30
; NumVgprs: 19
; ScratchSize: 0
; MemoryBound: 0
; FloatMode: 240
; IeeeMode: 1
; LDSByteSize: 8224 bytes/workgroup (compile time only)
; SGPRBlocks: 0
; VGPRBlocks: 1
; NumSGPRsForWavesPerEU: 30
; NumVGPRsForWavesPerEU: 19
; NamedBarCnt: 0
; Occupancy: 16
; WaveLimiterHint : 1
; COMPUTE_PGM_RSRC2:SCRATCH_EN: 0
; COMPUTE_PGM_RSRC2:USER_SGPR: 2
; COMPUTE_PGM_RSRC2:TRAP_HANDLER: 0
; COMPUTE_PGM_RSRC2:TGID_X_EN: 1
; COMPUTE_PGM_RSRC2:TGID_Y_EN: 1
; COMPUTE_PGM_RSRC2:TGID_Z_EN: 0
; COMPUTE_PGM_RSRC2:TIDIG_COMP_CNT: 0
	.section	.text._ZN9rocsolver6v33100L23larf_right_kernel_smallILi512EfiPKPfEEvT1_S5_T2_lS5_lPKT0_lS6_lS5_l,"axG",@progbits,_ZN9rocsolver6v33100L23larf_right_kernel_smallILi512EfiPKPfEEvT1_S5_T2_lS5_lPKT0_lS6_lS5_l,comdat
	.globl	_ZN9rocsolver6v33100L23larf_right_kernel_smallILi512EfiPKPfEEvT1_S5_T2_lS5_lPKT0_lS6_lS5_l ; -- Begin function _ZN9rocsolver6v33100L23larf_right_kernel_smallILi512EfiPKPfEEvT1_S5_T2_lS5_lPKT0_lS6_lS5_l
	.p2align	8
	.type	_ZN9rocsolver6v33100L23larf_right_kernel_smallILi512EfiPKPfEEvT1_S5_T2_lS5_lPKT0_lS6_lS5_l,@function
_ZN9rocsolver6v33100L23larf_right_kernel_smallILi512EfiPKPfEEvT1_S5_T2_lS5_lPKT0_lS6_lS5_l: ; @_ZN9rocsolver6v33100L23larf_right_kernel_smallILi512EfiPKPfEEvT1_S5_T2_lS5_lPKT0_lS6_lS5_l
; %bb.0:
	s_load_b256 s[4:11], s[0:1], 0x28
	s_bfe_u32 s2, ttmp6, 0x4000c
	s_and_b32 s3, ttmp6, 15
	s_add_co_i32 s2, s2, 1
	s_getreg_b32 s18, hwreg(HW_REG_IB_STS2, 6, 4)
	s_mul_i32 s2, ttmp9, s2
	s_load_b64 s[12:13], s[0:1], 0x0
	s_add_co_i32 s3, s3, s2
	s_cmp_eq_u32 s18, 0
	s_cselect_b32 s14, ttmp9, s3
	s_delay_alu instid0(SALU_CYCLE_1) | instskip(NEXT) | instid1(SALU_CYCLE_1)
	s_ashr_i32 s15, s14, 31
	s_lshl_b64 s[16:17], s[14:15], 3
	s_wait_kmcnt 0x0
	s_add_nc_u64 s[2:3], s[8:9], s[16:17]
	s_load_b64 s[8:9], s[2:3], 0x0
	s_wait_xcnt 0x0
	s_mov_b32 s3, 0
	v_cmp_gt_i32_e64 s2, s13, v0
	s_and_saveexec_b32 s19, s2
	s_cbranch_execz .LBB18_17
; %bb.1:
	s_clause 0x1
	s_load_b128 s[24:27], s[0:1], 0x8
	s_load_b32 s20, s[0:1], 0x18
	s_sub_co_i32 s21, 1, s13
	v_xad_u32 v3, v0, -1, s13
                                        ; implicit-def: $vgpr1
                                        ; implicit-def: $vgpr2
	s_wait_kmcnt 0x0
	s_add_nc_u64 s[16:17], s[24:25], s[16:17]
	s_lshl_b64 s[22:23], s[26:27], 2
	s_load_b64 s[16:17], s[16:17], 0x0
	s_mul_i32 s21, s20, s21
	s_cmp_lt_i32 s20, 1
	s_mov_b32 s24, -1
	s_cselect_b32 s21, s21, 0
	s_wait_kmcnt 0x0
	s_add_nc_u64 s[16:17], s[16:17], s[22:23]
	s_mov_b32 s22, exec_lo
	v_cmpx_lt_u32_e32 0x31ff, v3
	s_xor_b32 s22, exec_lo, s22
	s_cbranch_execnz .LBB18_4
; %bb.2:
	s_and_not1_saveexec_b32 s22, s22
	s_cbranch_execnz .LBB18_14
.LBB18_3:
	s_or_b32 exec_lo, exec_lo, s22
	s_delay_alu instid0(SALU_CYCLE_1)
	s_and_b32 exec_lo, exec_lo, s3
	s_cbranch_execnz .LBB18_15
	s_branch .LBB18_17
.LBB18_4:
	s_lshl_b32 s23, s20, 9
	v_mad_u32 v1, v0, s20, s21
	s_sub_co_i32 s3, 0, s23
	s_cmp_lt_i32 s23, 0
	v_lshrrev_b32_e32 v4, 9, v3
	s_cselect_b32 vcc_lo, -1, 0
	s_delay_alu instid0(SALU_CYCLE_1)
	s_and_b32 s25, vcc_lo, exec_lo
	s_cselect_b32 s25, s3, s23
	s_delay_alu instid0(VALU_DEP_1) | instid1(SALU_CYCLE_1)
	v_mul_lo_u32 v2, s25, v4
	s_delay_alu instid0(VALU_DEP_1) | instskip(NEXT) | instid1(VALU_DEP_1)
	v_sub_nc_u32_e32 v3, v1, v2
	v_cmp_gt_i32_e64 s3, v3, v1
	s_delay_alu instid0(VALU_DEP_1) | instskip(SKIP_1) | instid1(VALU_DEP_1)
	v_cndmask_b32_e64 v3, 0, 1, s3
	v_add_nc_u32_e32 v2, v1, v2
	v_cmp_lt_i32_e64 s3, v2, v1
	v_mul_hi_u32 v2, s25, v4
	s_delay_alu instid0(VALU_DEP_2) | instskip(NEXT) | instid1(VALU_DEP_1)
	v_cndmask_b32_e64 v1, 0, 1, s3
	v_cndmask_b32_e32 v1, v1, v3, vcc_lo
	s_delay_alu instid0(VALU_DEP_3) | instskip(NEXT) | instid1(VALU_DEP_2)
	v_cmp_eq_u32_e64 s3, 0, v2
	v_and_b32_e32 v1, 1, v1
	s_delay_alu instid0(VALU_DEP_1) | instskip(SKIP_2) | instid1(SALU_CYCLE_1)
	v_cmp_eq_u32_e32 vcc_lo, 1, v1
	v_mov_b32_e32 v1, v0
	s_xor_b32 s25, vcc_lo, -1
	s_and_b32 s25, s25, s3
	s_delay_alu instid0(SALU_CYCLE_1)
	s_and_saveexec_b32 s3, s25
	s_cbranch_execz .LBB18_13
; %bb.5:
	v_dual_add_nc_u32 v2, -1, v4 :: v_dual_mov_b32 v8, 0
	v_or_b32_e32 v1, 0x200, v0
	s_delay_alu instid0(VALU_DEP_2) | instskip(SKIP_1) | instid1(VALU_DEP_2)
	v_lshrrev_b32_e32 v3, 1, v2
	v_cmp_lt_u32_e32 vcc_lo, 5, v2
	v_add_nc_u32_e32 v5, 1, v3
	s_delay_alu instid0(VALU_DEP_4)
	v_mov_b64_e32 v[2:3], v[0:1]
	s_and_saveexec_b32 s24, vcc_lo
	s_cbranch_execz .LBB18_9
; %bb.6:
	v_mov_b64_e32 v[2:3], v[0:1]
	v_dual_lshlrev_b32 v7, 2, v0 :: v_dual_bitop2_b32 v6, -4, v5 bitop3:0x40
	s_mov_b32 s25, 0
	s_mov_b32 s26, 0
.LBB18_7:                               ; =>This Inner Loop Header: Depth=1
	s_delay_alu instid0(VALU_DEP_2) | instskip(NEXT) | instid1(VALU_DEP_3)
	v_mad_u32 v1, v2, s20, s21
	v_mad_u32 v8, v3, s20, s21
	s_add_co_i32 s26, s26, 8
	v_add_nc_u32_e32 v6, -4, v6
	s_clause 0x1
	flat_load_b32 v9, v1, s[16:17] scale_offset
	flat_load_b32 v10, v8, s[16:17] scale_offset
	s_wait_xcnt 0x1
	v_add_nc_u32_e32 v1, 0x400, v2
	s_wait_xcnt 0x0
	v_add_nc_u32_e32 v8, 0x400, v3
	v_cmp_eq_u32_e32 vcc_lo, 0, v6
	s_delay_alu instid0(VALU_DEP_3) | instskip(NEXT) | instid1(VALU_DEP_3)
	v_mad_u32 v1, v1, s20, s21
	v_mad_u32 v8, v8, s20, s21
	s_or_b32 s25, vcc_lo, s25
	s_wait_loadcnt_dscnt 0x0
	ds_store_2addr_stride64_b32 v7, v9, v10 offset1:8
	s_clause 0x1
	flat_load_b32 v9, v1, s[16:17] scale_offset
	flat_load_b32 v10, v8, s[16:17] scale_offset
	s_wait_xcnt 0x1
	v_add_nc_u32_e32 v1, 0x800, v2
	s_wait_xcnt 0x0
	v_add_nc_u32_e32 v8, 0x800, v3
	s_delay_alu instid0(VALU_DEP_2) | instskip(NEXT) | instid1(VALU_DEP_2)
	v_mad_u32 v1, v1, s20, s21
	v_mad_u32 v8, v8, s20, s21
	s_wait_loadcnt_dscnt 0x0
	ds_store_2addr_stride64_b32 v7, v9, v10 offset0:16 offset1:24
	s_clause 0x1
	flat_load_b32 v9, v1, s[16:17] scale_offset
	flat_load_b32 v10, v8, s[16:17] scale_offset
	s_wait_xcnt 0x1
	v_add_nc_u32_e32 v1, 0xc00, v2
	s_wait_xcnt 0x0
	v_add_nc_u32_e32 v8, 0xc00, v3
	v_add_nc_u32_e32 v3, 0x1000, v3
	;; [unrolled: 1-line block ×3, first 2 shown]
	v_mad_u32 v1, v1, s20, s21
	s_delay_alu instid0(VALU_DEP_4)
	v_mad_u32 v8, v8, s20, s21
	s_wait_loadcnt_dscnt 0x0
	ds_store_2addr_stride64_b32 v7, v9, v10 offset0:32 offset1:40
	s_clause 0x1
	flat_load_b32 v9, v1, s[16:17] scale_offset
	flat_load_b32 v10, v8, s[16:17] scale_offset
	s_wait_xcnt 0x0
	v_mov_b32_e32 v8, s26
	s_wait_loadcnt_dscnt 0x0
	ds_store_2addr_stride64_b32 v7, v9, v10 offset0:48 offset1:56
	v_add_nc_u32_e32 v7, 0x4000, v7
	s_and_not1_b32 exec_lo, exec_lo, s25
	s_cbranch_execnz .LBB18_7
; %bb.8:
	s_or_b32 exec_lo, exec_lo, s25
.LBB18_9:
	s_delay_alu instid0(SALU_CYCLE_1) | instskip(SKIP_3) | instid1(VALU_DEP_1)
	s_or_b32 exec_lo, exec_lo, s24
	v_and_b32_e32 v1, 3, v5
	s_mov_b32 s25, 0
	s_mov_b32 s24, exec_lo
	v_cmpx_ne_u32_e32 0, v1
	s_cbranch_execz .LBB18_12
; %bb.10:
	v_lshlrev_b32_e32 v5, 2, v0
	s_delay_alu instid0(VALU_DEP_1)
	v_lshl_or_b32 v5, v8, 11, v5
.LBB18_11:                              ; =>This Inner Loop Header: Depth=1
	v_mad_u32 v6, v2, s20, s21
	v_mad_u32 v7, v3, s20, s21
	v_add_nc_u32_e32 v1, -1, v1
	v_add_nc_u32_e32 v3, 0x400, v3
	v_add_nc_u32_e32 v2, 0x400, v2
	s_clause 0x1
	flat_load_b32 v8, v6, s[16:17] scale_offset
	flat_load_b32 v9, v7, s[16:17] scale_offset
	v_cmp_eq_u32_e32 vcc_lo, 0, v1
	s_or_b32 s25, vcc_lo, s25
	s_wait_loadcnt_dscnt 0x0
	ds_store_2addr_stride64_b32 v5, v8, v9 offset1:8
	v_add_nc_u32_e32 v5, 0x1000, v5
	s_and_not1_b32 exec_lo, exec_lo, s25
	s_cbranch_execnz .LBB18_11
.LBB18_12:
	s_or_b32 exec_lo, exec_lo, s24
	v_add_nc_u32_e32 v1, 1, v4
	s_delay_alu instid0(VALU_DEP_1) | instskip(NEXT) | instid1(VALU_DEP_1)
	v_and_b32_e32 v2, 0xfffffe, v1
	v_cmp_ne_u32_e32 vcc_lo, v1, v2
	v_lshl_or_b32 v1, v2, 9, v0
	s_or_not1_b32 s24, vcc_lo, exec_lo
.LBB18_13:
	s_or_b32 exec_lo, exec_lo, s3
	v_mov_b32_e32 v2, s23
	s_and_b32 s3, s24, exec_lo
	s_and_not1_saveexec_b32 s22, s22
	s_cbranch_execz .LBB18_3
.LBB18_14:
	s_lshl_b32 s23, s20, 9
	s_or_b32 s3, s3, exec_lo
	v_dual_mov_b32 v2, s23 :: v_dual_mov_b32 v1, v0
	s_or_b32 exec_lo, exec_lo, s22
	s_delay_alu instid0(SALU_CYCLE_1)
	s_and_b32 exec_lo, exec_lo, s3
	s_cbranch_execz .LBB18_17
.LBB18_15:
	s_delay_alu instid0(VALU_DEP_1)
	v_mad_u32 v3, v1, s20, s21
	v_lshlrev_b32_e32 v4, 2, v1
	s_mov_b32 s3, 0
.LBB18_16:                              ; =>This Inner Loop Header: Depth=1
	flat_load_b32 v5, v3, s[16:17] scale_offset
	v_add_nc_u32_e32 v1, 0x200, v1
	s_wait_xcnt 0x0
	v_add_nc_u32_e32 v3, v3, v2
	s_delay_alu instid0(VALU_DEP_2)
	v_cmp_le_i32_e32 vcc_lo, s13, v1
	s_or_b32 s3, vcc_lo, s3
	s_wait_loadcnt_dscnt 0x0
	ds_store_b32 v4, v5
	v_add_nc_u32_e32 v4, 0x800, v4
	s_and_not1_b32 exec_lo, exec_lo, s3
	s_cbranch_execnz .LBB18_16
.LBB18_17:
	s_or_b32 exec_lo, exec_lo, s19
	s_bfe_u32 s3, ttmp6, 0x40010
	s_bfe_u32 s16, ttmp6, 0x40004
	s_add_co_i32 s3, s3, 1
	s_wait_dscnt 0x0
	s_mul_i32 s3, ttmp7, s3
	s_barrier_signal -1
	s_add_co_i32 s16, s16, s3
	s_cmp_eq_u32 s18, 0
	s_barrier_wait -1
	s_cselect_b32 s16, ttmp7, s16
	s_delay_alu instid0(SALU_CYCLE_1)
	s_cmp_ge_i32 s16, s12
	s_cbranch_scc1 .LBB18_37
; %bb.18:
	s_load_b32 s17, s[0:1], 0x48
	v_dual_lshrrev_b32 v1, 3, v0 :: v_dual_bitop2_b32 v5, 31, v0 bitop3:0x40
	v_mbcnt_lo_u32_b32 v3, -1, 0
	s_lshl_b64 s[10:11], s[10:11], 2
	s_mul_u64 s[14:15], s[6:7], s[14:15]
	s_wait_xcnt 0x0
	v_cmp_eq_u32_e64 s0, 0, v0
	v_dual_mov_b32 v7, 0x200c :: v_dual_lshlrev_b32 v2, 2, v0
	v_dual_mov_b32 v4, 0x2004 :: v_dual_mov_b32 v13, 0
	s_wait_kmcnt 0x0
	s_add_nc_u64 s[6:7], s[8:9], s[10:11]
	s_lshl_b64 s[8:9], s[14:15], 2
	v_cmp_eq_u32_e64 s1, 0, v5
	v_lshl_or_b32 v5, v3, 2, 64
	v_mov_b32_e32 v8, 0x2014
	v_mov_b32_e32 v9, 0x201c
	;; [unrolled: 1-line block ×5, first 2 shown]
	v_mul_lo_u32 v6, v0, s17
	s_cmp_gt_i32 s13, 1
	s_add_nc_u64 s[4:5], s[4:5], s[8:9]
	s_cselect_b32 s3, -1, 0
	s_lshl_b32 s10, s17, 9
	s_branch .LBB18_20
.LBB18_19:                              ;   in Loop: Header=BB18_20 Depth=1
	s_or_b32 exec_lo, exec_lo, s11
	s_add_co_i32 s16, s16, 64
	s_delay_alu instid0(SALU_CYCLE_1)
	s_cmp_ge_i32 s16, s12
	s_cbranch_scc1 .LBB18_37
.LBB18_20:                              ; =>This Loop Header: Depth=1
                                        ;     Child Loop BB18_22 Depth 2
                                        ;     Child Loop BB18_36 Depth 2
	s_ashr_i32 s17, s16, 31
	v_mov_b32_e32 v14, 0
	s_lshl_b64 s[8:9], s[16:17], 2
	s_delay_alu instid0(SALU_CYCLE_1)
	s_add_nc_u64 s[8:9], s[6:7], s[8:9]
	s_and_saveexec_b32 s11, s2
	s_cbranch_execz .LBB18_24
; %bb.21:                               ;   in Loop: Header=BB18_20 Depth=1
	v_dual_mov_b32 v14, 0 :: v_dual_mov_b32 v15, v6
	v_dual_mov_b32 v16, v2 :: v_dual_mov_b32 v17, v0
	s_mov_b32 s14, 0
.LBB18_22:                              ;   Parent Loop BB18_20 Depth=1
                                        ; =>  This Inner Loop Header: Depth=2
	flat_load_b32 v18, v15, s[8:9] scale_offset
	ds_load_b32 v19, v16
	v_add_nc_u32_e32 v17, 0x200, v17
	v_add_nc_u32_e32 v16, 0x800, v16
	s_wait_loadcnt_dscnt 0x0
	s_wait_xcnt 0x0
	v_dual_fmac_f32 v14, v19, v18 :: v_dual_add_nc_u32 v15, s10, v15
	v_cmp_le_i32_e32 vcc_lo, s13, v17
	s_or_b32 s14, vcc_lo, s14
	s_delay_alu instid0(SALU_CYCLE_1)
	s_and_not1_b32 exec_lo, exec_lo, s14
	s_cbranch_execnz .LBB18_22
; %bb.23:                               ;   in Loop: Header=BB18_20 Depth=1
	s_or_b32 exec_lo, exec_lo, s14
.LBB18_24:                              ;   in Loop: Header=BB18_20 Depth=1
	s_delay_alu instid0(SALU_CYCLE_1) | instskip(NEXT) | instid1(SALU_CYCLE_1)
	s_or_b32 exec_lo, exec_lo, s11
	s_and_b32 vcc_lo, exec_lo, s3
	s_cbranch_vccz .LBB18_31
; %bb.25:                               ;   in Loop: Header=BB18_20 Depth=1
	v_cmp_ne_u32_e32 vcc_lo, 31, v3
	v_add_co_ci_u32_e64 v15, null, 0, v3, vcc_lo
	v_cmp_gt_u32_e32 vcc_lo, 30, v3
	s_delay_alu instid0(VALU_DEP_2)
	v_lshlrev_b32_e32 v15, 2, v15
	v_cndmask_b32_e64 v16, 0, 2, vcc_lo
	v_cmp_gt_u32_e32 vcc_lo, 28, v3
	ds_bpermute_b32 v15, v15, v14
	v_add_lshl_u32 v16, v16, v3, 2
	v_cndmask_b32_e64 v17, 0, 4, vcc_lo
	v_cmp_gt_u32_e32 vcc_lo, 24, v3
	s_delay_alu instid0(VALU_DEP_2)
	v_add_lshl_u32 v17, v17, v3, 2
	s_wait_dscnt 0x0
	v_add_f32_e32 v15, v14, v15
	ds_bpermute_b32 v16, v16, v15
	s_wait_dscnt 0x0
	v_add_f32_e32 v15, v15, v16
	ds_bpermute_b32 v16, v17, v15
	v_cndmask_b32_e64 v17, 0, 8, vcc_lo
	s_wait_dscnt 0x0
	v_add_f32_e32 v15, v15, v16
	s_delay_alu instid0(VALU_DEP_2)
	v_add_lshl_u32 v16, v17, v3, 2
	ds_bpermute_b32 v16, v16, v15
	s_wait_dscnt 0x0
	v_add_f32_e32 v15, v15, v16
	ds_bpermute_b32 v16, v5, v15
	s_wait_dscnt 0x0
	v_add_f32_e32 v15, v15, v16
	s_and_saveexec_b32 s11, s1
; %bb.26:                               ;   in Loop: Header=BB18_20 Depth=1
	ds_store_b32 v1, v15 offset:8192
; %bb.27:                               ;   in Loop: Header=BB18_20 Depth=1
	s_or_b32 exec_lo, exec_lo, s11
	s_mov_b32 s14, 0
	s_mov_b32 s11, 0
	s_wait_dscnt 0x0
	s_barrier_signal -1
	s_barrier_wait -1
                                        ; implicit-def: $vgpr16
	s_and_saveexec_b32 s15, s0
	s_delay_alu instid0(SALU_CYCLE_1)
	s_xor_b32 s15, exec_lo, s15
	s_cbranch_execz .LBB18_29
; %bb.28:                               ;   in Loop: Header=BB18_20 Depth=1
	ds_load_2addr_b32 v[16:17], v4 offset1:1
	ds_load_2addr_b32 v[18:19], v7 offset1:1
	;; [unrolled: 1-line block ×4, first 2 shown]
	s_mov_b32 s11, exec_lo
	s_wait_dscnt 0x3
	v_add_f32_e32 v15, v15, v16
	s_delay_alu instid0(VALU_DEP_1) | instskip(SKIP_3) | instid1(VALU_DEP_1)
	v_add_f32_e32 v15, v15, v17
	ds_load_2addr_b32 v[16:17], v10 offset1:1
	s_wait_dscnt 0x3
	v_add_f32_e32 v15, v15, v18
	v_add_f32_e32 v15, v15, v19
	ds_load_2addr_b32 v[18:19], v11 offset1:1
	s_wait_dscnt 0x3
	v_add_f32_e32 v15, v15, v20
	s_delay_alu instid0(VALU_DEP_1) | instskip(SKIP_1) | instid1(VALU_DEP_1)
	v_add_f32_e32 v15, v15, v21
	s_wait_dscnt 0x2
	v_add_f32_e32 v15, v15, v22
	ds_load_2addr_b32 v[20:21], v12 offset1:1
	ds_load_b32 v22, v13 offset:8252
	v_add_f32_e32 v15, v15, v23
	s_wait_dscnt 0x3
	s_delay_alu instid0(VALU_DEP_1) | instskip(NEXT) | instid1(VALU_DEP_1)
	v_add_f32_e32 v15, v15, v16
	v_add_f32_e32 v15, v15, v17
	s_wait_dscnt 0x2
	s_delay_alu instid0(VALU_DEP_1) | instskip(NEXT) | instid1(VALU_DEP_1)
	v_add_f32_e32 v15, v15, v18
	;; [unrolled: 4-line block ×3, first 2 shown]
	v_add_f32_e32 v15, v15, v21
	s_wait_dscnt 0x0
	s_delay_alu instid0(VALU_DEP_1)
	v_add_f32_e32 v16, v15, v22
.LBB18_29:                              ;   in Loop: Header=BB18_20 Depth=1
	s_or_b32 exec_lo, exec_lo, s15
	s_delay_alu instid0(SALU_CYCLE_1)
	s_and_b32 vcc_lo, exec_lo, s14
	s_cbranch_vccnz .LBB18_32
.LBB18_30:                              ;   in Loop: Header=BB18_20 Depth=1
	s_delay_alu instid0(VALU_DEP_1)
	v_mov_b32_e32 v14, v16
	s_and_saveexec_b32 s14, s11
	s_cbranch_execnz .LBB18_33
	s_branch .LBB18_34
.LBB18_31:                              ;   in Loop: Header=BB18_20 Depth=1
	s_mov_b32 s11, 0
                                        ; implicit-def: $vgpr16
	s_cbranch_execz .LBB18_30
.LBB18_32:                              ;   in Loop: Header=BB18_20 Depth=1
	s_and_not1_b32 s11, s11, exec_lo
	s_and_b32 s14, s0, exec_lo
	s_delay_alu instid0(SALU_CYCLE_1) | instskip(NEXT) | instid1(SALU_CYCLE_1)
	s_or_b32 s11, s11, s14
	s_and_saveexec_b32 s14, s11
.LBB18_33:                              ;   in Loop: Header=BB18_20 Depth=1
	ds_store_b32 v13, v14 offset:8192
.LBB18_34:                              ;   in Loop: Header=BB18_20 Depth=1
	s_or_b32 exec_lo, exec_lo, s14
	s_wait_dscnt 0x0
	s_barrier_signal -1
	s_barrier_wait -1
	s_and_saveexec_b32 s11, s2
	s_cbranch_execz .LBB18_19
; %bb.35:                               ;   in Loop: Header=BB18_20 Depth=1
	global_load_b32 v14, v13, s[4:5]
	ds_load_b32 v16, v13 offset:8192
	s_mov_b32 s14, 0
	v_mov_b32_e32 v15, v6
	s_wait_loadcnt 0x0
	v_xor_b32_e32 v17, 0x80000000, v14
	s_wait_dscnt 0x0
	s_delay_alu instid0(VALU_DEP_1)
	v_dual_mov_b32 v14, v2 :: v_dual_mul_f32 v16, v16, v17
	v_mov_b32_e32 v17, v0
.LBB18_36:                              ;   Parent Loop BB18_20 Depth=1
                                        ; =>  This Inner Loop Header: Depth=2
	flat_load_b32 v18, v15, s[8:9] scale_offset
	ds_load_b32 v19, v14
	v_add_nc_u32_e32 v17, 0x200, v17
	v_add_nc_u32_e32 v14, 0x800, v14
	s_wait_loadcnt_dscnt 0x0
	v_fmac_f32_e32 v18, v16, v19
	s_delay_alu instid0(VALU_DEP_3) | instskip(SKIP_4) | instid1(SALU_CYCLE_1)
	v_cmp_le_i32_e32 vcc_lo, s13, v17
	flat_store_b32 v15, v18, s[8:9] scale_offset
	s_wait_xcnt 0x0
	v_add_nc_u32_e32 v15, s10, v15
	s_or_b32 s14, vcc_lo, s14
	s_and_not1_b32 exec_lo, exec_lo, s14
	s_cbranch_execnz .LBB18_36
	s_branch .LBB18_19
.LBB18_37:
	s_endpgm
	.section	.rodata,"a",@progbits
	.p2align	6, 0x0
	.amdhsa_kernel _ZN9rocsolver6v33100L23larf_right_kernel_smallILi512EfiPKPfEEvT1_S5_T2_lS5_lPKT0_lS6_lS5_l
		.amdhsa_group_segment_fixed_size 8256
		.amdhsa_private_segment_fixed_size 0
		.amdhsa_kernarg_size 88
		.amdhsa_user_sgpr_count 2
		.amdhsa_user_sgpr_dispatch_ptr 0
		.amdhsa_user_sgpr_queue_ptr 0
		.amdhsa_user_sgpr_kernarg_segment_ptr 1
		.amdhsa_user_sgpr_dispatch_id 0
		.amdhsa_user_sgpr_kernarg_preload_length 0
		.amdhsa_user_sgpr_kernarg_preload_offset 0
		.amdhsa_user_sgpr_private_segment_size 0
		.amdhsa_wavefront_size32 1
		.amdhsa_uses_dynamic_stack 0
		.amdhsa_enable_private_segment 0
		.amdhsa_system_sgpr_workgroup_id_x 1
		.amdhsa_system_sgpr_workgroup_id_y 1
		.amdhsa_system_sgpr_workgroup_id_z 0
		.amdhsa_system_sgpr_workgroup_info 0
		.amdhsa_system_vgpr_workitem_id 0
		.amdhsa_next_free_vgpr 24
		.amdhsa_next_free_sgpr 28
		.amdhsa_named_barrier_count 0
		.amdhsa_reserve_vcc 1
		.amdhsa_float_round_mode_32 0
		.amdhsa_float_round_mode_16_64 0
		.amdhsa_float_denorm_mode_32 3
		.amdhsa_float_denorm_mode_16_64 3
		.amdhsa_fp16_overflow 0
		.amdhsa_memory_ordered 1
		.amdhsa_forward_progress 1
		.amdhsa_inst_pref_size 18
		.amdhsa_round_robin_scheduling 0
		.amdhsa_exception_fp_ieee_invalid_op 0
		.amdhsa_exception_fp_denorm_src 0
		.amdhsa_exception_fp_ieee_div_zero 0
		.amdhsa_exception_fp_ieee_overflow 0
		.amdhsa_exception_fp_ieee_underflow 0
		.amdhsa_exception_fp_ieee_inexact 0
		.amdhsa_exception_int_div_zero 0
	.end_amdhsa_kernel
	.section	.text._ZN9rocsolver6v33100L23larf_right_kernel_smallILi512EfiPKPfEEvT1_S5_T2_lS5_lPKT0_lS6_lS5_l,"axG",@progbits,_ZN9rocsolver6v33100L23larf_right_kernel_smallILi512EfiPKPfEEvT1_S5_T2_lS5_lPKT0_lS6_lS5_l,comdat
.Lfunc_end18:
	.size	_ZN9rocsolver6v33100L23larf_right_kernel_smallILi512EfiPKPfEEvT1_S5_T2_lS5_lPKT0_lS6_lS5_l, .Lfunc_end18-_ZN9rocsolver6v33100L23larf_right_kernel_smallILi512EfiPKPfEEvT1_S5_T2_lS5_lPKT0_lS6_lS5_l
                                        ; -- End function
	.set _ZN9rocsolver6v33100L23larf_right_kernel_smallILi512EfiPKPfEEvT1_S5_T2_lS5_lPKT0_lS6_lS5_l.num_vgpr, 24
	.set _ZN9rocsolver6v33100L23larf_right_kernel_smallILi512EfiPKPfEEvT1_S5_T2_lS5_lPKT0_lS6_lS5_l.num_agpr, 0
	.set _ZN9rocsolver6v33100L23larf_right_kernel_smallILi512EfiPKPfEEvT1_S5_T2_lS5_lPKT0_lS6_lS5_l.numbered_sgpr, 28
	.set _ZN9rocsolver6v33100L23larf_right_kernel_smallILi512EfiPKPfEEvT1_S5_T2_lS5_lPKT0_lS6_lS5_l.num_named_barrier, 0
	.set _ZN9rocsolver6v33100L23larf_right_kernel_smallILi512EfiPKPfEEvT1_S5_T2_lS5_lPKT0_lS6_lS5_l.private_seg_size, 0
	.set _ZN9rocsolver6v33100L23larf_right_kernel_smallILi512EfiPKPfEEvT1_S5_T2_lS5_lPKT0_lS6_lS5_l.uses_vcc, 1
	.set _ZN9rocsolver6v33100L23larf_right_kernel_smallILi512EfiPKPfEEvT1_S5_T2_lS5_lPKT0_lS6_lS5_l.uses_flat_scratch, 1
	.set _ZN9rocsolver6v33100L23larf_right_kernel_smallILi512EfiPKPfEEvT1_S5_T2_lS5_lPKT0_lS6_lS5_l.has_dyn_sized_stack, 0
	.set _ZN9rocsolver6v33100L23larf_right_kernel_smallILi512EfiPKPfEEvT1_S5_T2_lS5_lPKT0_lS6_lS5_l.has_recursion, 0
	.set _ZN9rocsolver6v33100L23larf_right_kernel_smallILi512EfiPKPfEEvT1_S5_T2_lS5_lPKT0_lS6_lS5_l.has_indirect_call, 0
	.section	.AMDGPU.csdata,"",@progbits
; Kernel info:
; codeLenInByte = 2208
; TotalNumSgprs: 30
; NumVgprs: 24
; ScratchSize: 0
; MemoryBound: 0
; FloatMode: 240
; IeeeMode: 1
; LDSByteSize: 8256 bytes/workgroup (compile time only)
; SGPRBlocks: 0
; VGPRBlocks: 1
; NumSGPRsForWavesPerEU: 30
; NumVGPRsForWavesPerEU: 24
; NamedBarCnt: 0
; Occupancy: 16
; WaveLimiterHint : 1
; COMPUTE_PGM_RSRC2:SCRATCH_EN: 0
; COMPUTE_PGM_RSRC2:USER_SGPR: 2
; COMPUTE_PGM_RSRC2:TRAP_HANDLER: 0
; COMPUTE_PGM_RSRC2:TGID_X_EN: 1
; COMPUTE_PGM_RSRC2:TGID_Y_EN: 1
; COMPUTE_PGM_RSRC2:TGID_Z_EN: 0
; COMPUTE_PGM_RSRC2:TIDIG_COMP_CNT: 0
	.section	.text._ZN9rocsolver6v33100L23larf_right_kernel_smallILi1024EfiPKPfEEvT1_S5_T2_lS5_lPKT0_lS6_lS5_l,"axG",@progbits,_ZN9rocsolver6v33100L23larf_right_kernel_smallILi1024EfiPKPfEEvT1_S5_T2_lS5_lPKT0_lS6_lS5_l,comdat
	.globl	_ZN9rocsolver6v33100L23larf_right_kernel_smallILi1024EfiPKPfEEvT1_S5_T2_lS5_lPKT0_lS6_lS5_l ; -- Begin function _ZN9rocsolver6v33100L23larf_right_kernel_smallILi1024EfiPKPfEEvT1_S5_T2_lS5_lPKT0_lS6_lS5_l
	.p2align	8
	.type	_ZN9rocsolver6v33100L23larf_right_kernel_smallILi1024EfiPKPfEEvT1_S5_T2_lS5_lPKT0_lS6_lS5_l,@function
_ZN9rocsolver6v33100L23larf_right_kernel_smallILi1024EfiPKPfEEvT1_S5_T2_lS5_lPKT0_lS6_lS5_l: ; @_ZN9rocsolver6v33100L23larf_right_kernel_smallILi1024EfiPKPfEEvT1_S5_T2_lS5_lPKT0_lS6_lS5_l
; %bb.0:
	s_load_b256 s[4:11], s[0:1], 0x28
	s_bfe_u32 s2, ttmp6, 0x4000c
	s_and_b32 s3, ttmp6, 15
	s_add_co_i32 s2, s2, 1
	s_getreg_b32 s18, hwreg(HW_REG_IB_STS2, 6, 4)
	s_mul_i32 s2, ttmp9, s2
	s_load_b64 s[12:13], s[0:1], 0x0
	s_add_co_i32 s3, s3, s2
	s_cmp_eq_u32 s18, 0
	s_cselect_b32 s14, ttmp9, s3
	s_delay_alu instid0(SALU_CYCLE_1) | instskip(NEXT) | instid1(SALU_CYCLE_1)
	s_ashr_i32 s15, s14, 31
	s_lshl_b64 s[16:17], s[14:15], 3
	s_wait_kmcnt 0x0
	s_add_nc_u64 s[2:3], s[8:9], s[16:17]
	s_load_b64 s[8:9], s[2:3], 0x0
	s_wait_xcnt 0x0
	s_mov_b32 s3, 0
	v_cmp_gt_i32_e64 s2, s13, v0
	s_and_saveexec_b32 s19, s2
	s_cbranch_execz .LBB19_17
; %bb.1:
	s_clause 0x1
	s_load_b128 s[24:27], s[0:1], 0x8
	s_load_b32 s20, s[0:1], 0x18
	s_sub_co_i32 s21, 1, s13
	v_xad_u32 v3, v0, -1, s13
                                        ; implicit-def: $vgpr1
                                        ; implicit-def: $vgpr2
	s_wait_kmcnt 0x0
	s_add_nc_u64 s[16:17], s[24:25], s[16:17]
	s_lshl_b64 s[22:23], s[26:27], 2
	s_load_b64 s[16:17], s[16:17], 0x0
	s_mul_i32 s21, s20, s21
	s_cmp_lt_i32 s20, 1
	s_mov_b32 s24, -1
	s_cselect_b32 s21, s21, 0
	s_wait_kmcnt 0x0
	s_add_nc_u64 s[16:17], s[16:17], s[22:23]
	s_mov_b32 s22, exec_lo
	v_cmpx_lt_u32_e32 0x63ff, v3
	s_xor_b32 s22, exec_lo, s22
	s_cbranch_execnz .LBB19_4
; %bb.2:
	s_and_not1_saveexec_b32 s22, s22
	s_cbranch_execnz .LBB19_14
.LBB19_3:
	s_or_b32 exec_lo, exec_lo, s22
	s_delay_alu instid0(SALU_CYCLE_1)
	s_and_b32 exec_lo, exec_lo, s3
	s_cbranch_execnz .LBB19_15
	s_branch .LBB19_17
.LBB19_4:
	s_lshl_b32 s23, s20, 10
	v_mad_u32 v1, v0, s20, s21
	s_sub_co_i32 s3, 0, s23
	s_cmp_lt_i32 s23, 0
	v_lshrrev_b32_e32 v4, 10, v3
	s_cselect_b32 vcc_lo, -1, 0
	s_delay_alu instid0(SALU_CYCLE_1)
	s_and_b32 s25, vcc_lo, exec_lo
	s_cselect_b32 s25, s3, s23
	s_delay_alu instid0(VALU_DEP_1) | instid1(SALU_CYCLE_1)
	v_mul_lo_u32 v2, s25, v4
	s_delay_alu instid0(VALU_DEP_1) | instskip(NEXT) | instid1(VALU_DEP_1)
	v_sub_nc_u32_e32 v3, v1, v2
	v_cmp_gt_i32_e64 s3, v3, v1
	s_delay_alu instid0(VALU_DEP_1) | instskip(SKIP_1) | instid1(VALU_DEP_1)
	v_cndmask_b32_e64 v3, 0, 1, s3
	v_add_nc_u32_e32 v2, v1, v2
	v_cmp_lt_i32_e64 s3, v2, v1
	v_mul_hi_u32 v2, s25, v4
	s_delay_alu instid0(VALU_DEP_2) | instskip(NEXT) | instid1(VALU_DEP_1)
	v_cndmask_b32_e64 v1, 0, 1, s3
	v_cndmask_b32_e32 v1, v1, v3, vcc_lo
	s_delay_alu instid0(VALU_DEP_3) | instskip(NEXT) | instid1(VALU_DEP_2)
	v_cmp_eq_u32_e64 s3, 0, v2
	v_and_b32_e32 v1, 1, v1
	s_delay_alu instid0(VALU_DEP_1) | instskip(SKIP_2) | instid1(SALU_CYCLE_1)
	v_cmp_eq_u32_e32 vcc_lo, 1, v1
	v_mov_b32_e32 v1, v0
	s_xor_b32 s25, vcc_lo, -1
	s_and_b32 s25, s25, s3
	s_delay_alu instid0(SALU_CYCLE_1)
	s_and_saveexec_b32 s3, s25
	s_cbranch_execz .LBB19_13
; %bb.5:
	v_dual_add_nc_u32 v2, -1, v4 :: v_dual_mov_b32 v8, 0
	v_or_b32_e32 v1, 0x400, v0
	s_delay_alu instid0(VALU_DEP_2) | instskip(SKIP_1) | instid1(VALU_DEP_2)
	v_lshrrev_b32_e32 v3, 1, v2
	v_cmp_lt_u32_e32 vcc_lo, 5, v2
	v_add_nc_u32_e32 v5, 1, v3
	s_delay_alu instid0(VALU_DEP_4)
	v_mov_b64_e32 v[2:3], v[0:1]
	s_and_saveexec_b32 s24, vcc_lo
	s_cbranch_execz .LBB19_9
; %bb.6:
	v_mov_b64_e32 v[2:3], v[0:1]
	v_dual_lshlrev_b32 v7, 2, v0 :: v_dual_bitop2_b32 v6, -4, v5 bitop3:0x40
	s_mov_b32 s25, 0
	s_mov_b32 s26, 0
.LBB19_7:                               ; =>This Inner Loop Header: Depth=1
	s_delay_alu instid0(VALU_DEP_2) | instskip(NEXT) | instid1(VALU_DEP_3)
	v_mad_u32 v1, v2, s20, s21
	v_mad_u32 v8, v3, s20, s21
	s_add_co_i32 s26, s26, 8
	v_add_nc_u32_e32 v6, -4, v6
	s_clause 0x1
	flat_load_b32 v9, v1, s[16:17] scale_offset
	flat_load_b32 v10, v8, s[16:17] scale_offset
	s_wait_xcnt 0x1
	v_add_nc_u32_e32 v1, 0x800, v2
	s_wait_xcnt 0x0
	v_add_nc_u32_e32 v8, 0x800, v3
	v_cmp_eq_u32_e32 vcc_lo, 0, v6
	s_delay_alu instid0(VALU_DEP_3) | instskip(NEXT) | instid1(VALU_DEP_3)
	v_mad_u32 v1, v1, s20, s21
	v_mad_u32 v8, v8, s20, s21
	s_or_b32 s25, vcc_lo, s25
	s_wait_loadcnt_dscnt 0x0
	ds_store_2addr_stride64_b32 v7, v9, v10 offset1:16
	s_clause 0x1
	flat_load_b32 v9, v1, s[16:17] scale_offset
	flat_load_b32 v10, v8, s[16:17] scale_offset
	s_wait_xcnt 0x1
	v_add_nc_u32_e32 v1, 0x1000, v2
	s_wait_xcnt 0x0
	v_add_nc_u32_e32 v8, 0x1000, v3
	s_delay_alu instid0(VALU_DEP_2) | instskip(NEXT) | instid1(VALU_DEP_2)
	v_mad_u32 v1, v1, s20, s21
	v_mad_u32 v8, v8, s20, s21
	s_wait_loadcnt_dscnt 0x0
	ds_store_2addr_stride64_b32 v7, v9, v10 offset0:32 offset1:48
	s_clause 0x1
	flat_load_b32 v9, v1, s[16:17] scale_offset
	flat_load_b32 v10, v8, s[16:17] scale_offset
	s_wait_xcnt 0x1
	v_add_nc_u32_e32 v1, 0x1800, v2
	s_wait_xcnt 0x0
	v_add_nc_u32_e32 v8, 0x1800, v3
	v_add_nc_u32_e32 v3, 0x2000, v3
	;; [unrolled: 1-line block ×3, first 2 shown]
	v_mad_u32 v1, v1, s20, s21
	s_delay_alu instid0(VALU_DEP_4)
	v_mad_u32 v8, v8, s20, s21
	s_wait_loadcnt_dscnt 0x0
	ds_store_2addr_stride64_b32 v7, v9, v10 offset0:64 offset1:80
	s_clause 0x1
	flat_load_b32 v9, v1, s[16:17] scale_offset
	flat_load_b32 v10, v8, s[16:17] scale_offset
	s_wait_xcnt 0x0
	v_mov_b32_e32 v8, s26
	s_wait_loadcnt_dscnt 0x0
	ds_store_2addr_stride64_b32 v7, v9, v10 offset0:96 offset1:112
	v_add_nc_u32_e32 v7, 0x8000, v7
	s_and_not1_b32 exec_lo, exec_lo, s25
	s_cbranch_execnz .LBB19_7
; %bb.8:
	s_or_b32 exec_lo, exec_lo, s25
.LBB19_9:
	s_delay_alu instid0(SALU_CYCLE_1) | instskip(SKIP_3) | instid1(VALU_DEP_1)
	s_or_b32 exec_lo, exec_lo, s24
	v_and_b32_e32 v1, 3, v5
	s_mov_b32 s25, 0
	s_mov_b32 s24, exec_lo
	v_cmpx_ne_u32_e32 0, v1
	s_cbranch_execz .LBB19_12
; %bb.10:
	v_lshlrev_b32_e32 v5, 2, v0
	s_delay_alu instid0(VALU_DEP_1)
	v_lshl_or_b32 v5, v8, 12, v5
.LBB19_11:                              ; =>This Inner Loop Header: Depth=1
	v_mad_u32 v6, v2, s20, s21
	v_mad_u32 v7, v3, s20, s21
	v_add_nc_u32_e32 v1, -1, v1
	v_add_nc_u32_e32 v3, 0x800, v3
	v_add_nc_u32_e32 v2, 0x800, v2
	s_clause 0x1
	flat_load_b32 v8, v6, s[16:17] scale_offset
	flat_load_b32 v9, v7, s[16:17] scale_offset
	v_cmp_eq_u32_e32 vcc_lo, 0, v1
	s_or_b32 s25, vcc_lo, s25
	s_wait_loadcnt_dscnt 0x0
	ds_store_2addr_stride64_b32 v5, v8, v9 offset1:16
	v_add_nc_u32_e32 v5, 0x2000, v5
	s_and_not1_b32 exec_lo, exec_lo, s25
	s_cbranch_execnz .LBB19_11
.LBB19_12:
	s_or_b32 exec_lo, exec_lo, s24
	v_add_nc_u32_e32 v1, 1, v4
	s_delay_alu instid0(VALU_DEP_1) | instskip(NEXT) | instid1(VALU_DEP_1)
	v_and_b32_e32 v2, 0x7ffffe, v1
	v_cmp_ne_u32_e32 vcc_lo, v1, v2
	v_lshl_or_b32 v1, v2, 10, v0
	s_or_not1_b32 s24, vcc_lo, exec_lo
.LBB19_13:
	s_or_b32 exec_lo, exec_lo, s3
	v_mov_b32_e32 v2, s23
	s_and_b32 s3, s24, exec_lo
	s_and_not1_saveexec_b32 s22, s22
	s_cbranch_execz .LBB19_3
.LBB19_14:
	s_lshl_b32 s23, s20, 10
	s_or_b32 s3, s3, exec_lo
	v_dual_mov_b32 v2, s23 :: v_dual_mov_b32 v1, v0
	s_or_b32 exec_lo, exec_lo, s22
	s_delay_alu instid0(SALU_CYCLE_1)
	s_and_b32 exec_lo, exec_lo, s3
	s_cbranch_execz .LBB19_17
.LBB19_15:
	s_delay_alu instid0(VALU_DEP_1)
	v_mad_u32 v3, v1, s20, s21
	v_lshlrev_b32_e32 v4, 2, v1
	s_mov_b32 s3, 0
.LBB19_16:                              ; =>This Inner Loop Header: Depth=1
	flat_load_b32 v5, v3, s[16:17] scale_offset
	v_add_nc_u32_e32 v1, 0x400, v1
	s_wait_xcnt 0x0
	v_add_nc_u32_e32 v3, v3, v2
	s_delay_alu instid0(VALU_DEP_2)
	v_cmp_le_i32_e32 vcc_lo, s13, v1
	s_or_b32 s3, vcc_lo, s3
	s_wait_loadcnt_dscnt 0x0
	ds_store_b32 v4, v5
	v_add_nc_u32_e32 v4, 0x1000, v4
	s_and_not1_b32 exec_lo, exec_lo, s3
	s_cbranch_execnz .LBB19_16
.LBB19_17:
	s_or_b32 exec_lo, exec_lo, s19
	s_bfe_u32 s3, ttmp6, 0x40010
	s_bfe_u32 s16, ttmp6, 0x40004
	s_add_co_i32 s3, s3, 1
	s_wait_dscnt 0x0
	s_mul_i32 s3, ttmp7, s3
	s_barrier_signal -1
	s_add_co_i32 s16, s16, s3
	s_cmp_eq_u32 s18, 0
	s_barrier_wait -1
	s_cselect_b32 s16, ttmp7, s16
	s_delay_alu instid0(SALU_CYCLE_1)
	s_cmp_ge_i32 s16, s12
	s_cbranch_scc1 .LBB19_37
; %bb.18:
	s_load_b32 s17, s[0:1], 0x48
	v_dual_lshrrev_b32 v1, 3, v0 :: v_dual_bitop2_b32 v11, 31, v0 bitop3:0x40
	v_mbcnt_lo_u32_b32 v3, -1, 0
	s_lshl_b64 s[10:11], s[10:11], 2
	s_mul_u64 s[14:15], s[6:7], s[14:15]
	s_wait_xcnt 0x0
	v_cmp_eq_u32_e64 s0, 0, v0
	v_dual_mov_b32 v5, 0x200c :: v_dual_lshlrev_b32 v2, 2, v0
	v_dual_mov_b32 v4, 0x2004 :: v_dual_mov_b32 v21, 0
	v_mov_b32_e32 v6, 0x2014
	v_mov_b32_e32 v7, 0x201c
	;; [unrolled: 1-line block ×5, first 2 shown]
	s_wait_kmcnt 0x0
	s_add_nc_u64 s[6:7], s[8:9], s[10:11]
	s_lshl_b64 s[8:9], s[14:15], 2
	v_cmp_eq_u32_e64 s1, 0, v11
	v_lshl_or_b32 v11, v3, 2, 64
	v_mul_lo_u32 v12, v0, s17
	v_mov_b32_e32 v13, 0x203c
	v_mov_b32_e32 v14, 0x2044
	;; [unrolled: 1-line block ×8, first 2 shown]
	s_cmp_gt_i32 s13, 1
	s_add_nc_u64 s[4:5], s[4:5], s[8:9]
	s_cselect_b32 s3, -1, 0
	s_lshl_b32 s10, s17, 10
	s_branch .LBB19_20
.LBB19_19:                              ;   in Loop: Header=BB19_20 Depth=1
	s_or_b32 exec_lo, exec_lo, s11
	s_add_co_i32 s16, s16, 64
	s_delay_alu instid0(SALU_CYCLE_1)
	s_cmp_ge_i32 s16, s12
	s_cbranch_scc1 .LBB19_37
.LBB19_20:                              ; =>This Loop Header: Depth=1
                                        ;     Child Loop BB19_22 Depth 2
                                        ;     Child Loop BB19_36 Depth 2
	s_ashr_i32 s17, s16, 31
	v_mov_b32_e32 v22, 0
	s_lshl_b64 s[8:9], s[16:17], 2
	s_delay_alu instid0(SALU_CYCLE_1)
	s_add_nc_u64 s[8:9], s[6:7], s[8:9]
	s_and_saveexec_b32 s11, s2
	s_cbranch_execz .LBB19_24
; %bb.21:                               ;   in Loop: Header=BB19_20 Depth=1
	v_dual_mov_b32 v22, 0 :: v_dual_mov_b32 v23, v12
	v_dual_mov_b32 v24, v2 :: v_dual_mov_b32 v25, v0
	s_mov_b32 s14, 0
.LBB19_22:                              ;   Parent Loop BB19_20 Depth=1
                                        ; =>  This Inner Loop Header: Depth=2
	flat_load_b32 v26, v23, s[8:9] scale_offset
	ds_load_b32 v27, v24
	v_add_nc_u32_e32 v25, 0x400, v25
	v_add_nc_u32_e32 v24, 0x1000, v24
	s_wait_loadcnt_dscnt 0x0
	s_wait_xcnt 0x0
	v_dual_fmac_f32 v22, v27, v26 :: v_dual_add_nc_u32 v23, s10, v23
	v_cmp_le_i32_e32 vcc_lo, s13, v25
	s_or_b32 s14, vcc_lo, s14
	s_delay_alu instid0(SALU_CYCLE_1)
	s_and_not1_b32 exec_lo, exec_lo, s14
	s_cbranch_execnz .LBB19_22
; %bb.23:                               ;   in Loop: Header=BB19_20 Depth=1
	s_or_b32 exec_lo, exec_lo, s14
.LBB19_24:                              ;   in Loop: Header=BB19_20 Depth=1
	s_delay_alu instid0(SALU_CYCLE_1) | instskip(NEXT) | instid1(SALU_CYCLE_1)
	s_or_b32 exec_lo, exec_lo, s11
	s_and_b32 vcc_lo, exec_lo, s3
	s_cbranch_vccz .LBB19_31
; %bb.25:                               ;   in Loop: Header=BB19_20 Depth=1
	v_cmp_ne_u32_e32 vcc_lo, 31, v3
	v_add_co_ci_u32_e64 v23, null, 0, v3, vcc_lo
	v_cmp_gt_u32_e32 vcc_lo, 30, v3
	s_delay_alu instid0(VALU_DEP_2)
	v_lshlrev_b32_e32 v23, 2, v23
	v_cndmask_b32_e64 v24, 0, 2, vcc_lo
	v_cmp_gt_u32_e32 vcc_lo, 28, v3
	ds_bpermute_b32 v23, v23, v22
	v_add_lshl_u32 v24, v24, v3, 2
	v_cndmask_b32_e64 v25, 0, 4, vcc_lo
	v_cmp_gt_u32_e32 vcc_lo, 24, v3
	s_delay_alu instid0(VALU_DEP_2)
	v_add_lshl_u32 v25, v25, v3, 2
	s_wait_dscnt 0x0
	v_add_f32_e32 v23, v22, v23
	ds_bpermute_b32 v24, v24, v23
	s_wait_dscnt 0x0
	v_add_f32_e32 v23, v23, v24
	ds_bpermute_b32 v24, v25, v23
	v_cndmask_b32_e64 v25, 0, 8, vcc_lo
	s_wait_dscnt 0x0
	v_add_f32_e32 v23, v23, v24
	s_delay_alu instid0(VALU_DEP_2)
	v_add_lshl_u32 v24, v25, v3, 2
	ds_bpermute_b32 v24, v24, v23
	s_wait_dscnt 0x0
	v_add_f32_e32 v23, v23, v24
	ds_bpermute_b32 v24, v11, v23
	s_wait_dscnt 0x0
	v_add_f32_e32 v23, v23, v24
	s_and_saveexec_b32 s11, s1
; %bb.26:                               ;   in Loop: Header=BB19_20 Depth=1
	ds_store_b32 v1, v23 offset:8192
; %bb.27:                               ;   in Loop: Header=BB19_20 Depth=1
	s_or_b32 exec_lo, exec_lo, s11
	s_mov_b32 s14, 0
	s_mov_b32 s11, 0
	s_wait_dscnt 0x0
	s_barrier_signal -1
	s_barrier_wait -1
                                        ; implicit-def: $vgpr24
	s_and_saveexec_b32 s15, s0
	s_delay_alu instid0(SALU_CYCLE_1)
	s_xor_b32 s15, exec_lo, s15
	s_cbranch_execz .LBB19_29
; %bb.28:                               ;   in Loop: Header=BB19_20 Depth=1
	ds_load_2addr_b32 v[24:25], v4 offset1:1
	ds_load_2addr_b32 v[26:27], v5 offset1:1
	;; [unrolled: 1-line block ×4, first 2 shown]
	s_mov_b32 s11, exec_lo
	s_wait_dscnt 0x3
	v_add_f32_e32 v23, v23, v24
	s_delay_alu instid0(VALU_DEP_1) | instskip(SKIP_3) | instid1(VALU_DEP_1)
	v_add_f32_e32 v23, v23, v25
	ds_load_2addr_b32 v[24:25], v8 offset1:1
	s_wait_dscnt 0x3
	v_add_f32_e32 v23, v23, v26
	v_add_f32_e32 v23, v23, v27
	ds_load_2addr_b32 v[26:27], v9 offset1:1
	s_wait_dscnt 0x3
	v_add_f32_e32 v23, v23, v28
	s_delay_alu instid0(VALU_DEP_1) | instskip(SKIP_1) | instid1(VALU_DEP_1)
	v_add_f32_e32 v23, v23, v29
	s_wait_dscnt 0x2
	v_add_f32_e32 v23, v23, v30
	s_delay_alu instid0(VALU_DEP_1) | instskip(SKIP_4) | instid1(VALU_DEP_1)
	v_add_f32_e32 v23, v23, v31
	ds_load_2addr_b32 v[28:29], v10 offset1:1
	ds_load_2addr_b32 v[30:31], v13 offset1:1
	s_wait_dscnt 0x3
	v_add_f32_e32 v23, v23, v24
	v_add_f32_e32 v23, v23, v25
	ds_load_2addr_b32 v[24:25], v14 offset1:1
	s_wait_dscnt 0x3
	v_add_f32_e32 v23, v23, v26
	s_delay_alu instid0(VALU_DEP_1) | instskip(SKIP_3) | instid1(VALU_DEP_1)
	v_add_f32_e32 v23, v23, v27
	ds_load_2addr_b32 v[26:27], v15 offset1:1
	s_wait_dscnt 0x3
	v_add_f32_e32 v23, v23, v28
	v_add_f32_e32 v23, v23, v29
	s_wait_dscnt 0x2
	s_delay_alu instid0(VALU_DEP_1) | instskip(NEXT) | instid1(VALU_DEP_1)
	v_add_f32_e32 v23, v23, v30
	v_add_f32_e32 v23, v23, v31
	ds_load_2addr_b32 v[28:29], v16 offset1:1
	ds_load_2addr_b32 v[30:31], v17 offset1:1
	s_wait_dscnt 0x3
	v_add_f32_e32 v23, v23, v24
	s_delay_alu instid0(VALU_DEP_1) | instskip(SKIP_3) | instid1(VALU_DEP_1)
	v_add_f32_e32 v23, v23, v25
	ds_load_2addr_b32 v[24:25], v18 offset1:1
	s_wait_dscnt 0x3
	v_add_f32_e32 v23, v23, v26
	v_add_f32_e32 v23, v23, v27
	ds_load_2addr_b32 v[26:27], v19 offset1:1
	s_wait_dscnt 0x3
	v_add_f32_e32 v23, v23, v28
	s_delay_alu instid0(VALU_DEP_1) | instskip(SKIP_1) | instid1(VALU_DEP_1)
	v_add_f32_e32 v23, v23, v29
	s_wait_dscnt 0x2
	v_add_f32_e32 v23, v23, v30
	ds_load_2addr_b32 v[28:29], v20 offset1:1
	ds_load_b32 v30, v21 offset:8316
	v_add_f32_e32 v23, v23, v31
	s_wait_dscnt 0x3
	s_delay_alu instid0(VALU_DEP_1) | instskip(NEXT) | instid1(VALU_DEP_1)
	v_add_f32_e32 v23, v23, v24
	v_add_f32_e32 v23, v23, v25
	s_wait_dscnt 0x2
	s_delay_alu instid0(VALU_DEP_1) | instskip(NEXT) | instid1(VALU_DEP_1)
	v_add_f32_e32 v23, v23, v26
	;; [unrolled: 4-line block ×3, first 2 shown]
	v_add_f32_e32 v23, v23, v29
	s_wait_dscnt 0x0
	s_delay_alu instid0(VALU_DEP_1)
	v_add_f32_e32 v24, v23, v30
.LBB19_29:                              ;   in Loop: Header=BB19_20 Depth=1
	s_or_b32 exec_lo, exec_lo, s15
	s_delay_alu instid0(SALU_CYCLE_1)
	s_and_b32 vcc_lo, exec_lo, s14
	s_cbranch_vccnz .LBB19_32
.LBB19_30:                              ;   in Loop: Header=BB19_20 Depth=1
	s_delay_alu instid0(VALU_DEP_1)
	v_mov_b32_e32 v22, v24
	s_and_saveexec_b32 s14, s11
	s_cbranch_execnz .LBB19_33
	s_branch .LBB19_34
.LBB19_31:                              ;   in Loop: Header=BB19_20 Depth=1
	s_mov_b32 s11, 0
                                        ; implicit-def: $vgpr24
	s_cbranch_execz .LBB19_30
.LBB19_32:                              ;   in Loop: Header=BB19_20 Depth=1
	s_and_not1_b32 s11, s11, exec_lo
	s_and_b32 s14, s0, exec_lo
	s_delay_alu instid0(SALU_CYCLE_1) | instskip(NEXT) | instid1(SALU_CYCLE_1)
	s_or_b32 s11, s11, s14
	s_and_saveexec_b32 s14, s11
.LBB19_33:                              ;   in Loop: Header=BB19_20 Depth=1
	ds_store_b32 v21, v22 offset:8192
.LBB19_34:                              ;   in Loop: Header=BB19_20 Depth=1
	s_or_b32 exec_lo, exec_lo, s14
	s_wait_dscnt 0x0
	s_barrier_signal -1
	s_barrier_wait -1
	s_and_saveexec_b32 s11, s2
	s_cbranch_execz .LBB19_19
; %bb.35:                               ;   in Loop: Header=BB19_20 Depth=1
	global_load_b32 v22, v21, s[4:5]
	ds_load_b32 v24, v21 offset:8192
	s_mov_b32 s14, 0
	v_mov_b32_e32 v23, v12
	s_wait_loadcnt 0x0
	v_xor_b32_e32 v25, 0x80000000, v22
	s_wait_dscnt 0x0
	s_delay_alu instid0(VALU_DEP_1)
	v_dual_mov_b32 v22, v2 :: v_dual_mul_f32 v24, v24, v25
	v_mov_b32_e32 v25, v0
.LBB19_36:                              ;   Parent Loop BB19_20 Depth=1
                                        ; =>  This Inner Loop Header: Depth=2
	flat_load_b32 v26, v23, s[8:9] scale_offset
	ds_load_b32 v27, v22
	v_add_nc_u32_e32 v25, 0x400, v25
	v_add_nc_u32_e32 v22, 0x1000, v22
	s_wait_loadcnt_dscnt 0x0
	v_fmac_f32_e32 v26, v24, v27
	s_delay_alu instid0(VALU_DEP_3) | instskip(SKIP_4) | instid1(SALU_CYCLE_1)
	v_cmp_le_i32_e32 vcc_lo, s13, v25
	flat_store_b32 v23, v26, s[8:9] scale_offset
	s_wait_xcnt 0x0
	v_add_nc_u32_e32 v23, s10, v23
	s_or_b32 s14, vcc_lo, s14
	s_and_not1_b32 exec_lo, exec_lo, s14
	s_cbranch_execnz .LBB19_36
	s_branch .LBB19_19
.LBB19_37:
	s_endpgm
	.section	.rodata,"a",@progbits
	.p2align	6, 0x0
	.amdhsa_kernel _ZN9rocsolver6v33100L23larf_right_kernel_smallILi1024EfiPKPfEEvT1_S5_T2_lS5_lPKT0_lS6_lS5_l
		.amdhsa_group_segment_fixed_size 8320
		.amdhsa_private_segment_fixed_size 0
		.amdhsa_kernarg_size 88
		.amdhsa_user_sgpr_count 2
		.amdhsa_user_sgpr_dispatch_ptr 0
		.amdhsa_user_sgpr_queue_ptr 0
		.amdhsa_user_sgpr_kernarg_segment_ptr 1
		.amdhsa_user_sgpr_dispatch_id 0
		.amdhsa_user_sgpr_kernarg_preload_length 0
		.amdhsa_user_sgpr_kernarg_preload_offset 0
		.amdhsa_user_sgpr_private_segment_size 0
		.amdhsa_wavefront_size32 1
		.amdhsa_uses_dynamic_stack 0
		.amdhsa_enable_private_segment 0
		.amdhsa_system_sgpr_workgroup_id_x 1
		.amdhsa_system_sgpr_workgroup_id_y 1
		.amdhsa_system_sgpr_workgroup_id_z 0
		.amdhsa_system_sgpr_workgroup_info 0
		.amdhsa_system_vgpr_workitem_id 0
		.amdhsa_next_free_vgpr 32
		.amdhsa_next_free_sgpr 28
		.amdhsa_named_barrier_count 0
		.amdhsa_reserve_vcc 1
		.amdhsa_float_round_mode_32 0
		.amdhsa_float_round_mode_16_64 0
		.amdhsa_float_denorm_mode_32 3
		.amdhsa_float_denorm_mode_16_64 3
		.amdhsa_fp16_overflow 0
		.amdhsa_memory_ordered 1
		.amdhsa_forward_progress 1
		.amdhsa_inst_pref_size 20
		.amdhsa_round_robin_scheduling 0
		.amdhsa_exception_fp_ieee_invalid_op 0
		.amdhsa_exception_fp_denorm_src 0
		.amdhsa_exception_fp_ieee_div_zero 0
		.amdhsa_exception_fp_ieee_overflow 0
		.amdhsa_exception_fp_ieee_underflow 0
		.amdhsa_exception_fp_ieee_inexact 0
		.amdhsa_exception_int_div_zero 0
	.end_amdhsa_kernel
	.section	.text._ZN9rocsolver6v33100L23larf_right_kernel_smallILi1024EfiPKPfEEvT1_S5_T2_lS5_lPKT0_lS6_lS5_l,"axG",@progbits,_ZN9rocsolver6v33100L23larf_right_kernel_smallILi1024EfiPKPfEEvT1_S5_T2_lS5_lPKT0_lS6_lS5_l,comdat
.Lfunc_end19:
	.size	_ZN9rocsolver6v33100L23larf_right_kernel_smallILi1024EfiPKPfEEvT1_S5_T2_lS5_lPKT0_lS6_lS5_l, .Lfunc_end19-_ZN9rocsolver6v33100L23larf_right_kernel_smallILi1024EfiPKPfEEvT1_S5_T2_lS5_lPKT0_lS6_lS5_l
                                        ; -- End function
	.set _ZN9rocsolver6v33100L23larf_right_kernel_smallILi1024EfiPKPfEEvT1_S5_T2_lS5_lPKT0_lS6_lS5_l.num_vgpr, 32
	.set _ZN9rocsolver6v33100L23larf_right_kernel_smallILi1024EfiPKPfEEvT1_S5_T2_lS5_lPKT0_lS6_lS5_l.num_agpr, 0
	.set _ZN9rocsolver6v33100L23larf_right_kernel_smallILi1024EfiPKPfEEvT1_S5_T2_lS5_lPKT0_lS6_lS5_l.numbered_sgpr, 28
	.set _ZN9rocsolver6v33100L23larf_right_kernel_smallILi1024EfiPKPfEEvT1_S5_T2_lS5_lPKT0_lS6_lS5_l.num_named_barrier, 0
	.set _ZN9rocsolver6v33100L23larf_right_kernel_smallILi1024EfiPKPfEEvT1_S5_T2_lS5_lPKT0_lS6_lS5_l.private_seg_size, 0
	.set _ZN9rocsolver6v33100L23larf_right_kernel_smallILi1024EfiPKPfEEvT1_S5_T2_lS5_lPKT0_lS6_lS5_l.uses_vcc, 1
	.set _ZN9rocsolver6v33100L23larf_right_kernel_smallILi1024EfiPKPfEEvT1_S5_T2_lS5_lPKT0_lS6_lS5_l.uses_flat_scratch, 1
	.set _ZN9rocsolver6v33100L23larf_right_kernel_smallILi1024EfiPKPfEEvT1_S5_T2_lS5_lPKT0_lS6_lS5_l.has_dyn_sized_stack, 0
	.set _ZN9rocsolver6v33100L23larf_right_kernel_smallILi1024EfiPKPfEEvT1_S5_T2_lS5_lPKT0_lS6_lS5_l.has_recursion, 0
	.set _ZN9rocsolver6v33100L23larf_right_kernel_smallILi1024EfiPKPfEEvT1_S5_T2_lS5_lPKT0_lS6_lS5_l.has_indirect_call, 0
	.section	.AMDGPU.csdata,"",@progbits
; Kernel info:
; codeLenInByte = 2452
; TotalNumSgprs: 30
; NumVgprs: 32
; ScratchSize: 0
; MemoryBound: 0
; FloatMode: 240
; IeeeMode: 1
; LDSByteSize: 8320 bytes/workgroup (compile time only)
; SGPRBlocks: 0
; VGPRBlocks: 1
; NumSGPRsForWavesPerEU: 30
; NumVGPRsForWavesPerEU: 32
; NamedBarCnt: 0
; Occupancy: 16
; WaveLimiterHint : 1
; COMPUTE_PGM_RSRC2:SCRATCH_EN: 0
; COMPUTE_PGM_RSRC2:USER_SGPR: 2
; COMPUTE_PGM_RSRC2:TRAP_HANDLER: 0
; COMPUTE_PGM_RSRC2:TGID_X_EN: 1
; COMPUTE_PGM_RSRC2:TGID_Y_EN: 1
; COMPUTE_PGM_RSRC2:TGID_Z_EN: 0
; COMPUTE_PGM_RSRC2:TIDIG_COMP_CNT: 0
	.section	.text._ZN9rocsolver6v33100L22larf_left_kernel_smallILi64EflPfEEvT1_S3_T2_lS3_lPKT0_lS4_lS3_l,"axG",@progbits,_ZN9rocsolver6v33100L22larf_left_kernel_smallILi64EflPfEEvT1_S3_T2_lS3_lPKT0_lS4_lS3_l,comdat
	.globl	_ZN9rocsolver6v33100L22larf_left_kernel_smallILi64EflPfEEvT1_S3_T2_lS3_lPKT0_lS4_lS3_l ; -- Begin function _ZN9rocsolver6v33100L22larf_left_kernel_smallILi64EflPfEEvT1_S3_T2_lS3_lPKT0_lS4_lS3_l
	.p2align	8
	.type	_ZN9rocsolver6v33100L22larf_left_kernel_smallILi64EflPfEEvT1_S3_T2_lS3_lPKT0_lS4_lS3_l,@function
_ZN9rocsolver6v33100L22larf_left_kernel_smallILi64EflPfEEvT1_S3_T2_lS3_lPKT0_lS4_lS3_l: ; @_ZN9rocsolver6v33100L22larf_left_kernel_smallILi64EflPfEEvT1_S3_T2_lS3_lPKT0_lS4_lS3_l
; %bb.0:
	s_load_b512 s[8:23], s[0:1], 0x0
	s_mov_b64 s[4:5], 0
	s_wait_kmcnt 0x0
	v_cmp_gt_i64_e64 s2, s[16:17], 0
	s_and_b32 vcc_lo, exec_lo, s2
	s_cbranch_vccnz .LBB20_2
; %bb.1:
	s_sub_nc_u64 s[2:3], 1, s[8:9]
	s_delay_alu instid0(SALU_CYCLE_1)
	s_mul_u64 s[4:5], s[16:17], s[2:3]
.LBB20_2:
	s_bfe_u32 s2, ttmp6, 0x4000c
	v_mov_b32_e32 v1, 0
	s_add_co_i32 s2, s2, 1
	s_and_b32 s6, ttmp6, 15
	s_mul_i32 s2, ttmp9, s2
	s_getreg_b32 s3, hwreg(HW_REG_IB_STS2, 6, 4)
	s_add_co_i32 s6, s6, s2
	v_cmp_gt_i64_e64 s2, s[8:9], v[0:1]
	v_not_b32_e32 v2, v0
	s_cmp_eq_u32 s3, 0
	s_mov_b32 s7, 0
	s_cselect_b32 s24, ttmp9, s6
	s_mov_b32 s25, s7
	s_and_saveexec_b32 s6, s2
	s_cbranch_execz .LBB20_10
; %bb.3:
	v_mov_b32_e32 v3, -1
	v_mov_b64_e32 v[6:7], v[0:1]
	s_mul_u64 s[18:19], s[18:19], s[24:25]
	s_mov_b32 s26, -1
	s_mov_b32 s30, exec_lo
	v_add_nc_u64_e32 v[4:5], s[8:9], v[2:3]
	s_delay_alu instid0(VALU_DEP_1)
	v_cmpx_lt_u64_e32 63, v[4:5]
	s_cbranch_execz .LBB20_7
; %bb.4:
	v_lshrrev_b64 v[4:5], 6, v[4:5]
	s_lshl_b64 s[26:27], s[18:19], 2
	s_lshl_b64 s[28:29], s[14:15], 2
	s_add_nc_u64 s[26:27], s[12:13], s[26:27]
	s_lshl_b64 s[34:35], s[4:5], 2
	s_add_nc_u64 s[26:27], s[26:27], s[28:29]
	s_mov_b32 s28, s16
	v_add_nc_u64_e32 v[4:5], 1, v[4:5]
	v_mov_b32_e32 v7, 0
	s_add_nc_u64 s[26:27], s[26:27], s[34:35]
	s_mov_b32 s29, s17
	s_mov_b32 s31, 0
	s_delay_alu instid0(VALU_DEP_2) | instskip(NEXT) | instid1(VALU_DEP_3)
	v_dual_mov_b32 v9, v5 :: v_dual_bitop2_b32 v10, 64, v0 bitop3:0x54
	v_dual_mov_b32 v6, v0 :: v_dual_bitop2_b32 v8, -2, v4 bitop3:0x40
	v_mov_b32_e32 v11, v7
	s_delay_alu instid0(VALU_DEP_2)
	v_mov_b64_e32 v[12:13], v[8:9]
.LBB20_5:                               ; =>This Inner Loop Header: Depth=1
	s_delay_alu instid0(VALU_DEP_3) | instskip(NEXT) | instid1(VALU_DEP_3)
	v_mul_u64_e32 v[14:15], s[16:17], v[6:7]
	v_mul_u64_e32 v[16:17], s[28:29], v[10:11]
	s_delay_alu instid0(VALU_DEP_3) | instskip(NEXT) | instid1(VALU_DEP_1)
	v_add_nc_u64_e32 v[12:13], -2, v[12:13]
	v_cmp_eq_u64_e32 vcc_lo, 0, v[12:13]
	s_or_b32 s31, vcc_lo, s31
	s_delay_alu instid0(VALU_DEP_4) | instskip(NEXT) | instid1(VALU_DEP_4)
	v_lshl_add_u64 v[14:15], v[14:15], 2, s[26:27]
	v_lshl_add_u64 v[16:17], v[16:17], 2, s[26:27]
	s_clause 0x1
	global_load_b32 v3, v[14:15], off
	global_load_b32 v18, v[16:17], off
	s_wait_xcnt 0x1
	v_lshlrev_b32_e32 v14, 2, v6
	v_lshlrev_b32_e32 v15, 2, v10
	v_add_nc_u64_e32 v[10:11], 0x80, v[10:11]
	v_add_nc_u64_e32 v[6:7], 0x80, v[6:7]
	s_wait_loadcnt 0x1
	ds_store_b32 v14, v3
	s_wait_loadcnt 0x0
	ds_store_b32 v15, v18
	s_wait_xcnt 0x0
	s_and_not1_b32 exec_lo, exec_lo, s31
	s_cbranch_execnz .LBB20_5
; %bb.6:
	s_or_b32 exec_lo, exec_lo, s31
	v_lshlrev_b64_e32 v[6:7], 6, v[8:9]
	v_cmp_ne_u64_e32 vcc_lo, v[4:5], v[8:9]
	s_delay_alu instid0(VALU_DEP_2)
	v_or_b32_e32 v6, v6, v0
	s_or_not1_b32 s26, vcc_lo, exec_lo
.LBB20_7:
	s_or_b32 exec_lo, exec_lo, s30
	s_delay_alu instid0(SALU_CYCLE_1)
	s_and_b32 exec_lo, exec_lo, s26
	s_cbranch_execz .LBB20_10
; %bb.8:
	v_mul_u64_e32 v[4:5], s[16:17], v[6:7]
	s_lshl_b64 s[14:15], s[14:15], 2
	s_lshl_b64 s[4:5], s[4:5], 2
	s_add_nc_u64 s[12:13], s[12:13], s[14:15]
	s_lshl_b64 s[14:15], s[18:19], 2
	s_add_nc_u64 s[4:5], s[12:13], s[4:5]
	v_lshlrev_b32_e32 v3, 2, v6
	s_add_nc_u64 s[4:5], s[4:5], s[14:15]
	s_mov_b32 s12, 0
	s_delay_alu instid0(VALU_DEP_2)
	v_lshl_add_u64 v[4:5], v[4:5], 2, s[4:5]
	s_lshl_b64 s[4:5], s[16:17], 8
.LBB20_9:                               ; =>This Inner Loop Header: Depth=1
	global_load_b32 v8, v[4:5], off
	v_add_nc_u64_e32 v[6:7], 64, v[6:7]
	s_wait_xcnt 0x0
	v_add_nc_u64_e32 v[4:5], s[4:5], v[4:5]
	s_delay_alu instid0(VALU_DEP_2)
	v_cmp_le_i64_e32 vcc_lo, s[8:9], v[6:7]
	s_or_b32 s12, vcc_lo, s12
	s_wait_loadcnt 0x0
	ds_store_b32 v3, v8
	v_add_nc_u32_e32 v3, 0x100, v3
	s_and_not1_b32 exec_lo, exec_lo, s12
	s_cbranch_execnz .LBB20_9
.LBB20_10:
	s_or_b32 exec_lo, exec_lo, s6
	s_bfe_u32 s4, ttmp6, 0x40010
	s_bfe_u32 s5, ttmp6, 0x40004
	s_add_co_i32 s4, s4, 1
	s_wait_dscnt 0x0
	s_mul_i32 s4, ttmp7, s4
	s_barrier_signal -1
	s_add_co_i32 s5, s5, s4
	s_cmp_eq_u32 s3, 0
	s_barrier_wait -1
	s_cselect_b32 s6, ttmp7, s5
	s_delay_alu instid0(SALU_CYCLE_1)
	v_cmp_le_i64_e64 s3, s[10:11], s[6:7]
	s_and_b32 vcc_lo, exec_lo, s3
	s_cbranch_vccnz .LBB20_39
; %bb.11:
	v_mov_b32_e32 v3, -1
	s_load_b256 s[12:19], s[0:1], 0x40
	s_mul_u64 s[4:5], s[22:23], s[24:25]
	v_lshrrev_b32_e32 v32, 3, v0
	s_lshl_b64 s[4:5], s[4:5], 2
	v_add_nc_u64_e32 v[4:5], s[8:9], v[2:3]
	v_mov_b32_e32 v3, 0
	s_cmp_gt_i32 s8, 1
	v_lshlrev_b32_e32 v18, 2, v0
	s_cselect_b32 s22, -1, 0
	s_delay_alu instid0(VALU_DEP_2) | instskip(NEXT) | instid1(VALU_DEP_4)
	v_dual_mov_b32 v19, v3 :: v_dual_bitop2_b32 v2, 31, v0 bitop3:0x40
	v_lshrrev_b64 v[6:7], 6, v[4:5]
	v_lshlrev_b64_e32 v[10:11], 2, v[4:5]
	v_mbcnt_lo_u32_b32 v33, -1, 0
	s_add_nc_u64 s[20:21], s[20:21], s[4:5]
	v_cmp_eq_u32_e64 s3, 0, v2
	v_cmp_gt_u64_e64 s23, 0xc0, v[4:5]
	v_cmp_lt_u64_e64 s4, 0xbf, v[4:5]
	v_add_nc_u64_e32 v[6:7], 1, v[6:7]
	s_wait_xcnt 0x0
	v_cmp_gt_i32_e64 s0, s8, v0
	s_wait_kmcnt 0x0
	s_mul_u64 s[18:19], s[18:19], s[24:25]
	s_mul_u64 s[24:25], s[16:17], s[6:7]
	v_cmp_eq_u32_e64 s1, 0, v0
	s_add_nc_u64 s[26:27], s[18:19], s[24:25]
	s_lshl_b64 s[18:19], s[18:19], 2
	s_add_nc_u64 s[26:27], s[26:27], s[14:15]
	v_dual_mov_b32 v13, v7 :: v_dual_bitop2_b32 v12, -2, v6 bitop3:0x40
	v_add_nc_u64_e32 v[8:9], s[26:27], v[0:1]
	s_lshl_b64 s[24:25], s[24:25], 2
	s_lshl_b64 s[14:15], s[14:15], 2
	s_add_nc_u64 s[18:19], s[18:19], s[24:25]
	v_lshlrev_b64_e32 v[14:15], 6, v[12:13]
	s_add_nc_u64 s[14:15], s[18:19], s[14:15]
	s_mov_b64 s[18:19], 0x3fffffffffffffff
	v_lshl_add_u64 v[16:17], v[8:9], 2, s[12:13]
	s_add_nc_u64 s[12:13], s[12:13], s[14:15]
	v_cmp_lt_u64_e32 vcc_lo, s[18:19], v[4:5]
	v_add_nc_u64_e32 v[20:21], s[12:13], v[18:19]
	v_dual_mov_b32 v2, v0 :: v_dual_bitop2_b32 v14, v14, v0 bitop3:0x54
	v_cmp_ne_u64_e64 s5, v[6:7], v[12:13]
	v_and_b32_e32 v10, 0xffffff00, v10
	v_dual_mov_b32 v5, v3 :: v_dual_bitop2_b32 v4, 64, v0 bitop3:0x54
	v_add_nc_u64_e32 v[22:23], 0x100, v[20:21]
	v_lshlrev_b64_e32 v[24:25], 2, v[14:15]
	v_lshlrev_b32_e32 v34, 2, v0
	v_lshl_or_b32 v35, v33, 2, 64
	s_lshl_b64 s[14:15], s[16:17], 8
	s_mov_b64 s[16:17], 0
	s_xor_b32 s18, vcc_lo, -1
	s_branch .LBB20_13
.LBB20_12:                              ;   in Loop: Header=BB20_13 Depth=1
	s_or_b32 exec_lo, exec_lo, s19
	s_add_nc_u64 s[6:7], s[6:7], 64
	v_add_nc_u64_e32 v[20:21], s[14:15], v[20:21]
	v_cmp_ge_i64_e64 s19, s[6:7], s[10:11]
	v_add_nc_u64_e32 v[22:23], s[14:15], v[22:23]
	s_add_nc_u64 s[16:17], s[16:17], 1
	s_add_nc_u64 s[12:13], s[12:13], s[14:15]
	s_and_b32 vcc_lo, exec_lo, s19
	s_cbranch_vccnz .LBB20_39
.LBB20_13:                              ; =>This Loop Header: Depth=1
                                        ;     Child Loop BB20_15 Depth 2
                                        ;     Child Loop BB20_31 Depth 2
                                        ;     Child Loop BB20_38 Depth 2
	v_mov_b32_e32 v8, 0
	s_and_saveexec_b32 s19, s0
	s_cbranch_execz .LBB20_17
; %bb.14:                               ;   in Loop: Header=BB20_13 Depth=1
	v_mov_b64_e32 v[6:7], v[20:21]
	v_dual_mov_b32 v8, 0 :: v_dual_mov_b32 v9, v34
	v_mov_b32_e32 v26, v0
	s_mov_b32 s24, 0
.LBB20_15:                              ;   Parent Loop BB20_13 Depth=1
                                        ; =>  This Inner Loop Header: Depth=2
	global_load_b32 v27, v[6:7], off
	ds_load_b32 v28, v9
	v_add_nc_u32_e32 v26, 64, v26
	s_wait_xcnt 0x0
	v_add_nc_u64_e32 v[6:7], 0x100, v[6:7]
	s_wait_loadcnt_dscnt 0x0
	v_dual_fmac_f32 v8, v28, v27 :: v_dual_add_nc_u32 v9, 0x100, v9
	v_cmp_le_i32_e32 vcc_lo, s8, v26
	s_or_b32 s24, vcc_lo, s24
	s_delay_alu instid0(SALU_CYCLE_1)
	s_and_not1_b32 exec_lo, exec_lo, s24
	s_cbranch_execnz .LBB20_15
; %bb.16:                               ;   in Loop: Header=BB20_13 Depth=1
	s_or_b32 exec_lo, exec_lo, s24
.LBB20_17:                              ;   in Loop: Header=BB20_13 Depth=1
	s_delay_alu instid0(SALU_CYCLE_1) | instskip(NEXT) | instid1(SALU_CYCLE_1)
	s_or_b32 exec_lo, exec_lo, s19
	s_and_b32 vcc_lo, exec_lo, s22
	s_cbranch_vccz .LBB20_24
; %bb.18:                               ;   in Loop: Header=BB20_13 Depth=1
	v_cmp_ne_u32_e32 vcc_lo, 31, v33
	v_add_co_ci_u32_e64 v6, null, 0, v33, vcc_lo
	v_cmp_gt_u32_e32 vcc_lo, 30, v33
	s_delay_alu instid0(VALU_DEP_2)
	v_lshlrev_b32_e32 v6, 2, v6
	v_cndmask_b32_e64 v7, 0, 2, vcc_lo
	v_cmp_gt_u32_e32 vcc_lo, 28, v33
	ds_bpermute_b32 v6, v6, v8
	v_add_lshl_u32 v7, v7, v33, 2
	v_cndmask_b32_e64 v9, 0, 4, vcc_lo
	v_cmp_gt_u32_e32 vcc_lo, 24, v33
	s_delay_alu instid0(VALU_DEP_2)
	v_add_lshl_u32 v9, v9, v33, 2
	s_wait_dscnt 0x0
	v_add_f32_e32 v6, v8, v6
	ds_bpermute_b32 v7, v7, v6
	s_wait_dscnt 0x0
	v_add_f32_e32 v6, v6, v7
	ds_bpermute_b32 v7, v9, v6
	v_cndmask_b32_e64 v9, 0, 8, vcc_lo
	s_wait_dscnt 0x0
	v_add_f32_e32 v6, v6, v7
	s_delay_alu instid0(VALU_DEP_2)
	v_add_lshl_u32 v7, v9, v33, 2
	ds_bpermute_b32 v7, v7, v6
	s_wait_dscnt 0x0
	v_add_f32_e32 v6, v6, v7
	ds_bpermute_b32 v7, v35, v6
	s_wait_dscnt 0x0
	v_add_f32_e32 v7, v6, v7
	s_and_saveexec_b32 s19, s3
; %bb.19:                               ;   in Loop: Header=BB20_13 Depth=1
	ds_store_b32 v32, v7 offset:8192
; %bb.20:                               ;   in Loop: Header=BB20_13 Depth=1
	s_or_b32 exec_lo, exec_lo, s19
	s_mov_b32 s24, 0
	s_mov_b32 s19, 0
	s_wait_dscnt 0x0
	s_barrier_signal -1
	s_barrier_wait -1
                                        ; implicit-def: $vgpr6
	s_and_saveexec_b32 s25, s1
	s_delay_alu instid0(SALU_CYCLE_1)
	s_xor_b32 s25, exec_lo, s25
	s_cbranch_execz .LBB20_22
; %bb.21:                               ;   in Loop: Header=BB20_13 Depth=1
	ds_load_b32 v6, v3 offset:8196
	s_mov_b32 s19, exec_lo
	s_wait_dscnt 0x0
	v_add_f32_e32 v6, v7, v6
.LBB20_22:                              ;   in Loop: Header=BB20_13 Depth=1
	s_or_b32 exec_lo, exec_lo, s25
	s_delay_alu instid0(SALU_CYCLE_1)
	s_and_b32 vcc_lo, exec_lo, s24
	s_cbranch_vccnz .LBB20_25
.LBB20_23:                              ;   in Loop: Header=BB20_13 Depth=1
	s_delay_alu instid0(VALU_DEP_1)
	v_mov_b32_e32 v8, v6
	s_and_saveexec_b32 s24, s19
	s_cbranch_execnz .LBB20_26
	s_branch .LBB20_27
.LBB20_24:                              ;   in Loop: Header=BB20_13 Depth=1
	s_mov_b32 s19, 0
                                        ; implicit-def: $vgpr6
	s_cbranch_execz .LBB20_23
.LBB20_25:                              ;   in Loop: Header=BB20_13 Depth=1
	s_and_not1_b32 s19, s19, exec_lo
	s_and_b32 s24, s1, exec_lo
	s_delay_alu instid0(SALU_CYCLE_1) | instskip(NEXT) | instid1(SALU_CYCLE_1)
	s_or_b32 s19, s19, s24
	s_and_saveexec_b32 s24, s19
.LBB20_26:                              ;   in Loop: Header=BB20_13 Depth=1
	ds_store_b32 v3, v8 offset:8192
.LBB20_27:                              ;   in Loop: Header=BB20_13 Depth=1
	s_or_b32 exec_lo, exec_lo, s24
	s_wait_dscnt 0x0
	s_barrier_signal -1
	s_barrier_wait -1
	s_and_saveexec_b32 s19, s2
	s_cbranch_execz .LBB20_12
; %bb.28:                               ;   in Loop: Header=BB20_13 Depth=1
	global_load_b32 v6, v3, s[20:21]
	ds_load_b32 v8, v3 offset:8192
	s_mov_b32 s25, s23
	s_wait_loadcnt 0x0
	v_xor_b32_e32 v9, 0x80000000, v6
	v_mov_b64_e32 v[6:7], v[0:1]
	s_wait_dscnt 0x0
	s_delay_alu instid0(VALU_DEP_2)
	v_mul_f32_e32 v26, v8, v9
	v_mov_b64_e32 v[8:9], v[18:19]
	s_wait_xcnt 0x0
	s_and_saveexec_b32 s24, s4
	s_cbranch_execz .LBB20_36
; %bb.29:                               ;   in Loop: Header=BB20_13 Depth=1
	v_mad_nc_u64_u32 v[6:7], s14, s16, v[16:17]
	s_mul_i32 s25, s15, s16
	s_mul_i32 s26, s14, s17
	s_delay_alu instid0(VALU_DEP_1) | instid1(SALU_CYCLE_1)
	v_add3_u32 v7, s26, s25, v7
	s_mov_b32 s26, -1
	s_delay_alu instid0(VALU_DEP_1) | instskip(NEXT) | instid1(VALU_DEP_1)
	v_add_nc_u64_e32 v[8:9], v[6:7], v[10:11]
	v_cmp_ge_u64_e32 vcc_lo, v[8:9], v[6:7]
	v_mov_b64_e32 v[6:7], v[0:1]
	v_mov_b64_e32 v[8:9], v[18:19]
	s_and_b32 s27, vcc_lo, s18
	s_delay_alu instid0(SALU_CYCLE_1)
	s_and_saveexec_b32 s25, s27
	s_cbranch_execz .LBB20_35
; %bb.30:                               ;   in Loop: Header=BB20_13 Depth=1
	v_mov_b64_e32 v[8:9], v[4:5]
	v_mov_b64_e32 v[28:29], v[12:13]
	;; [unrolled: 1-line block ×4, first 2 shown]
	v_mov_b32_e32 v27, v26
	s_mov_b32 s26, 0
.LBB20_31:                              ;   Parent Loop BB20_13 Depth=1
                                        ; =>  This Inner Loop Header: Depth=2
	s_clause 0x1
	global_load_b32 v36, v[30:31], off offset:-256
	global_load_b32 v37, v[30:31], off
	v_dual_lshlrev_b32 v38, 2, v6 :: v_dual_lshlrev_b32 v39, 2, v8
	v_add_nc_u64_e32 v[28:29], -2, v[28:29]
	v_add_nc_u64_e32 v[8:9], 0x80, v[8:9]
	ds_load_b32 v38, v38
	ds_load_b32 v39, v39
	v_add_nc_u64_e32 v[6:7], 0x80, v[6:7]
	v_cmp_eq_u64_e32 vcc_lo, 0, v[28:29]
	s_or_b32 s26, vcc_lo, s26
	s_wait_loadcnt_dscnt 0x0
	v_pk_fma_f32 v[36:37], v[26:27], v[38:39], v[36:37]
	s_clause 0x1
	global_store_b32 v[30:31], v36, off offset:-256
	global_store_b32 v[30:31], v37, off
	s_wait_xcnt 0x0
	v_add_nc_u64_e32 v[30:31], 0x200, v[30:31]
	s_and_not1_b32 exec_lo, exec_lo, s26
	s_cbranch_execnz .LBB20_31
; %bb.32:                               ;   in Loop: Header=BB20_13 Depth=1
	s_or_b32 exec_lo, exec_lo, s26
	s_mov_b32 s26, 0
	s_and_saveexec_b32 s27, s5
; %bb.33:                               ;   in Loop: Header=BB20_13 Depth=1
	s_mov_b32 s26, exec_lo
; %bb.34:                               ;   in Loop: Header=BB20_13 Depth=1
	s_or_b32 exec_lo, exec_lo, s27
	v_mov_b64_e32 v[6:7], v[14:15]
	v_mov_b64_e32 v[8:9], v[24:25]
	s_or_not1_b32 s26, s26, exec_lo
.LBB20_35:                              ;   in Loop: Header=BB20_13 Depth=1
	s_or_b32 exec_lo, exec_lo, s25
	s_delay_alu instid0(SALU_CYCLE_1) | instskip(SKIP_1) | instid1(SALU_CYCLE_1)
	s_and_not1_b32 s25, s23, exec_lo
	s_and_b32 s26, s26, exec_lo
	s_or_b32 s25, s25, s26
.LBB20_36:                              ;   in Loop: Header=BB20_13 Depth=1
	s_or_b32 exec_lo, exec_lo, s24
	s_delay_alu instid0(SALU_CYCLE_1)
	s_and_b32 exec_lo, exec_lo, s25
	s_cbranch_execz .LBB20_12
; %bb.37:                               ;   in Loop: Header=BB20_13 Depth=1
	v_add_nc_u64_e32 v[8:9], s[12:13], v[8:9]
	v_lshlrev_b32_e32 v27, 2, v6
	s_mov_b32 s24, 0
.LBB20_38:                              ;   Parent Loop BB20_13 Depth=1
                                        ; =>  This Inner Loop Header: Depth=2
	global_load_b32 v28, v[8:9], off
	ds_load_b32 v29, v27
	v_add_nc_u64_e32 v[6:7], 64, v[6:7]
	v_add_nc_u32_e32 v27, 0x100, v27
	s_delay_alu instid0(VALU_DEP_2)
	v_cmp_le_i64_e32 vcc_lo, s[8:9], v[6:7]
	s_or_b32 s24, vcc_lo, s24
	s_wait_loadcnt_dscnt 0x0
	v_fmac_f32_e32 v28, v26, v29
	global_store_b32 v[8:9], v28, off
	s_wait_xcnt 0x0
	v_add_nc_u64_e32 v[8:9], 0x100, v[8:9]
	s_and_not1_b32 exec_lo, exec_lo, s24
	s_cbranch_execnz .LBB20_38
	s_branch .LBB20_12
.LBB20_39:
	s_endpgm
	.section	.rodata,"a",@progbits
	.p2align	6, 0x0
	.amdhsa_kernel _ZN9rocsolver6v33100L22larf_left_kernel_smallILi64EflPfEEvT1_S3_T2_lS3_lPKT0_lS4_lS3_l
		.amdhsa_group_segment_fixed_size 8448
		.amdhsa_private_segment_fixed_size 0
		.amdhsa_kernarg_size 96
		.amdhsa_user_sgpr_count 2
		.amdhsa_user_sgpr_dispatch_ptr 0
		.amdhsa_user_sgpr_queue_ptr 0
		.amdhsa_user_sgpr_kernarg_segment_ptr 1
		.amdhsa_user_sgpr_dispatch_id 0
		.amdhsa_user_sgpr_kernarg_preload_length 0
		.amdhsa_user_sgpr_kernarg_preload_offset 0
		.amdhsa_user_sgpr_private_segment_size 0
		.amdhsa_wavefront_size32 1
		.amdhsa_uses_dynamic_stack 0
		.amdhsa_enable_private_segment 0
		.amdhsa_system_sgpr_workgroup_id_x 1
		.amdhsa_system_sgpr_workgroup_id_y 1
		.amdhsa_system_sgpr_workgroup_id_z 0
		.amdhsa_system_sgpr_workgroup_info 0
		.amdhsa_system_vgpr_workitem_id 0
		.amdhsa_next_free_vgpr 81
		.amdhsa_next_free_sgpr 36
		.amdhsa_named_barrier_count 0
		.amdhsa_reserve_vcc 1
		.amdhsa_float_round_mode_32 0
		.amdhsa_float_round_mode_16_64 0
		.amdhsa_float_denorm_mode_32 3
		.amdhsa_float_denorm_mode_16_64 3
		.amdhsa_fp16_overflow 0
		.amdhsa_memory_ordered 1
		.amdhsa_forward_progress 1
		.amdhsa_inst_pref_size 15
		.amdhsa_round_robin_scheduling 0
		.amdhsa_exception_fp_ieee_invalid_op 0
		.amdhsa_exception_fp_denorm_src 0
		.amdhsa_exception_fp_ieee_div_zero 0
		.amdhsa_exception_fp_ieee_overflow 0
		.amdhsa_exception_fp_ieee_underflow 0
		.amdhsa_exception_fp_ieee_inexact 0
		.amdhsa_exception_int_div_zero 0
	.end_amdhsa_kernel
	.section	.text._ZN9rocsolver6v33100L22larf_left_kernel_smallILi64EflPfEEvT1_S3_T2_lS3_lPKT0_lS4_lS3_l,"axG",@progbits,_ZN9rocsolver6v33100L22larf_left_kernel_smallILi64EflPfEEvT1_S3_T2_lS3_lPKT0_lS4_lS3_l,comdat
.Lfunc_end20:
	.size	_ZN9rocsolver6v33100L22larf_left_kernel_smallILi64EflPfEEvT1_S3_T2_lS3_lPKT0_lS4_lS3_l, .Lfunc_end20-_ZN9rocsolver6v33100L22larf_left_kernel_smallILi64EflPfEEvT1_S3_T2_lS3_lPKT0_lS4_lS3_l
                                        ; -- End function
	.set _ZN9rocsolver6v33100L22larf_left_kernel_smallILi64EflPfEEvT1_S3_T2_lS3_lPKT0_lS4_lS3_l.num_vgpr, 40
	.set _ZN9rocsolver6v33100L22larf_left_kernel_smallILi64EflPfEEvT1_S3_T2_lS3_lPKT0_lS4_lS3_l.num_agpr, 0
	.set _ZN9rocsolver6v33100L22larf_left_kernel_smallILi64EflPfEEvT1_S3_T2_lS3_lPKT0_lS4_lS3_l.numbered_sgpr, 36
	.set _ZN9rocsolver6v33100L22larf_left_kernel_smallILi64EflPfEEvT1_S3_T2_lS3_lPKT0_lS4_lS3_l.num_named_barrier, 0
	.set _ZN9rocsolver6v33100L22larf_left_kernel_smallILi64EflPfEEvT1_S3_T2_lS3_lPKT0_lS4_lS3_l.private_seg_size, 0
	.set _ZN9rocsolver6v33100L22larf_left_kernel_smallILi64EflPfEEvT1_S3_T2_lS3_lPKT0_lS4_lS3_l.uses_vcc, 1
	.set _ZN9rocsolver6v33100L22larf_left_kernel_smallILi64EflPfEEvT1_S3_T2_lS3_lPKT0_lS4_lS3_l.uses_flat_scratch, 0
	.set _ZN9rocsolver6v33100L22larf_left_kernel_smallILi64EflPfEEvT1_S3_T2_lS3_lPKT0_lS4_lS3_l.has_dyn_sized_stack, 0
	.set _ZN9rocsolver6v33100L22larf_left_kernel_smallILi64EflPfEEvT1_S3_T2_lS3_lPKT0_lS4_lS3_l.has_recursion, 0
	.set _ZN9rocsolver6v33100L22larf_left_kernel_smallILi64EflPfEEvT1_S3_T2_lS3_lPKT0_lS4_lS3_l.has_indirect_call, 0
	.section	.AMDGPU.csdata,"",@progbits
; Kernel info:
; codeLenInByte = 1896
; TotalNumSgprs: 38
; NumVgprs: 40
; ScratchSize: 0
; MemoryBound: 0
; FloatMode: 240
; IeeeMode: 1
; LDSByteSize: 8448 bytes/workgroup (compile time only)
; SGPRBlocks: 0
; VGPRBlocks: 5
; NumSGPRsForWavesPerEU: 38
; NumVGPRsForWavesPerEU: 81
; NamedBarCnt: 0
; Occupancy: 10
; WaveLimiterHint : 1
; COMPUTE_PGM_RSRC2:SCRATCH_EN: 0
; COMPUTE_PGM_RSRC2:USER_SGPR: 2
; COMPUTE_PGM_RSRC2:TRAP_HANDLER: 0
; COMPUTE_PGM_RSRC2:TGID_X_EN: 1
; COMPUTE_PGM_RSRC2:TGID_Y_EN: 1
; COMPUTE_PGM_RSRC2:TGID_Z_EN: 0
; COMPUTE_PGM_RSRC2:TIDIG_COMP_CNT: 0
	.section	.text._ZN9rocsolver6v33100L22larf_left_kernel_smallILi128EflPfEEvT1_S3_T2_lS3_lPKT0_lS4_lS3_l,"axG",@progbits,_ZN9rocsolver6v33100L22larf_left_kernel_smallILi128EflPfEEvT1_S3_T2_lS3_lPKT0_lS4_lS3_l,comdat
	.globl	_ZN9rocsolver6v33100L22larf_left_kernel_smallILi128EflPfEEvT1_S3_T2_lS3_lPKT0_lS4_lS3_l ; -- Begin function _ZN9rocsolver6v33100L22larf_left_kernel_smallILi128EflPfEEvT1_S3_T2_lS3_lPKT0_lS4_lS3_l
	.p2align	8
	.type	_ZN9rocsolver6v33100L22larf_left_kernel_smallILi128EflPfEEvT1_S3_T2_lS3_lPKT0_lS4_lS3_l,@function
_ZN9rocsolver6v33100L22larf_left_kernel_smallILi128EflPfEEvT1_S3_T2_lS3_lPKT0_lS4_lS3_l: ; @_ZN9rocsolver6v33100L22larf_left_kernel_smallILi128EflPfEEvT1_S3_T2_lS3_lPKT0_lS4_lS3_l
; %bb.0:
	s_load_b512 s[8:23], s[0:1], 0x0
	s_mov_b64 s[24:25], 0
	s_wait_kmcnt 0x0
	v_cmp_gt_i64_e64 s2, s[16:17], 0
	s_and_b32 vcc_lo, exec_lo, s2
	s_cbranch_vccnz .LBB21_2
; %bb.1:
	s_sub_nc_u64 s[2:3], 1, s[8:9]
	s_delay_alu instid0(SALU_CYCLE_1)
	s_mul_u64 s[24:25], s[16:17], s[2:3]
.LBB21_2:
	s_bfe_u32 s2, ttmp6, 0x4000c
	v_mov_b32_e32 v1, 0
	s_add_co_i32 s2, s2, 1
	s_and_b32 s4, ttmp6, 15
	s_mul_i32 s2, ttmp9, s2
	s_getreg_b32 s3, hwreg(HW_REG_IB_STS2, 6, 4)
	s_add_co_i32 s4, s4, s2
	v_cmp_gt_i64_e64 s2, s[8:9], v[0:1]
	v_not_b32_e32 v2, v0
	s_cmp_eq_u32 s3, 0
	s_mov_b32 s7, 0
	s_cselect_b32 s4, ttmp9, s4
	s_mov_b32 s5, s7
	s_and_saveexec_b32 s6, s2
	s_cbranch_execz .LBB21_10
; %bb.3:
	v_mov_b32_e32 v3, -1
	v_mov_b64_e32 v[6:7], v[0:1]
	s_mul_u64 s[18:19], s[18:19], s[4:5]
	s_mov_b32 s26, -1
	s_mov_b32 s30, exec_lo
	v_add_nc_u64_e32 v[4:5], s[8:9], v[2:3]
	s_delay_alu instid0(VALU_DEP_1)
	v_cmpx_lt_u64_e32 0x7f, v[4:5]
	s_cbranch_execz .LBB21_7
; %bb.4:
	v_lshrrev_b64 v[4:5], 7, v[4:5]
	s_lshl_b64 s[26:27], s[18:19], 2
	s_lshl_b64 s[28:29], s[14:15], 2
	s_add_nc_u64 s[26:27], s[12:13], s[26:27]
	v_or_b32_e32 v10, 0x80, v0
	s_lshl_b64 s[34:35], s[24:25], 2
	s_add_nc_u64 s[26:27], s[26:27], s[28:29]
	v_add_nc_u64_e32 v[4:5], 1, v[4:5]
	v_mov_b32_e32 v7, 0
	s_add_nc_u64 s[26:27], s[26:27], s[34:35]
	s_mov_b32 s28, s16
	s_mov_b32 s29, s17
	;; [unrolled: 1-line block ×3, first 2 shown]
	s_delay_alu instid0(VALU_DEP_2) | instskip(SKIP_1) | instid1(VALU_DEP_1)
	v_dual_mov_b32 v6, v0 :: v_dual_mov_b32 v9, v5
	v_dual_mov_b32 v11, v7 :: v_dual_bitop2_b32 v8, -2, v4 bitop3:0x40
	v_mov_b64_e32 v[12:13], v[8:9]
.LBB21_5:                               ; =>This Inner Loop Header: Depth=1
	s_delay_alu instid0(VALU_DEP_3) | instskip(NEXT) | instid1(VALU_DEP_3)
	v_mul_u64_e32 v[14:15], s[16:17], v[6:7]
	v_mul_u64_e32 v[16:17], s[28:29], v[10:11]
	s_delay_alu instid0(VALU_DEP_3) | instskip(NEXT) | instid1(VALU_DEP_1)
	v_add_nc_u64_e32 v[12:13], -2, v[12:13]
	v_cmp_eq_u64_e32 vcc_lo, 0, v[12:13]
	s_or_b32 s31, vcc_lo, s31
	s_delay_alu instid0(VALU_DEP_4) | instskip(NEXT) | instid1(VALU_DEP_4)
	v_lshl_add_u64 v[14:15], v[14:15], 2, s[26:27]
	v_lshl_add_u64 v[16:17], v[16:17], 2, s[26:27]
	s_clause 0x1
	global_load_b32 v3, v[14:15], off
	global_load_b32 v18, v[16:17], off
	s_wait_xcnt 0x1
	v_lshlrev_b32_e32 v14, 2, v6
	v_lshlrev_b32_e32 v15, 2, v10
	v_add_nc_u64_e32 v[10:11], 0x100, v[10:11]
	v_add_nc_u64_e32 v[6:7], 0x100, v[6:7]
	s_wait_loadcnt 0x1
	ds_store_b32 v14, v3
	s_wait_loadcnt 0x0
	ds_store_b32 v15, v18
	s_wait_xcnt 0x0
	s_and_not1_b32 exec_lo, exec_lo, s31
	s_cbranch_execnz .LBB21_5
; %bb.6:
	s_or_b32 exec_lo, exec_lo, s31
	v_lshlrev_b64_e32 v[6:7], 7, v[8:9]
	v_cmp_ne_u64_e32 vcc_lo, v[4:5], v[8:9]
	s_delay_alu instid0(VALU_DEP_2)
	v_or_b32_e32 v6, v6, v0
	s_or_not1_b32 s26, vcc_lo, exec_lo
.LBB21_7:
	s_or_b32 exec_lo, exec_lo, s30
	s_delay_alu instid0(SALU_CYCLE_1)
	s_and_b32 exec_lo, exec_lo, s26
	s_cbranch_execz .LBB21_10
; %bb.8:
	v_mul_u64_e32 v[4:5], s[16:17], v[6:7]
	s_lshl_b64 s[14:15], s[14:15], 2
	s_lshl_b64 s[24:25], s[24:25], 2
	s_add_nc_u64 s[12:13], s[12:13], s[14:15]
	s_lshl_b64 s[14:15], s[18:19], 2
	s_add_nc_u64 s[12:13], s[12:13], s[24:25]
	v_lshlrev_b32_e32 v3, 2, v6
	s_add_nc_u64 s[12:13], s[12:13], s[14:15]
	s_mov_b32 s14, 0
	s_delay_alu instid0(VALU_DEP_2)
	v_lshl_add_u64 v[4:5], v[4:5], 2, s[12:13]
	s_lshl_b64 s[12:13], s[16:17], 9
.LBB21_9:                               ; =>This Inner Loop Header: Depth=1
	global_load_b32 v8, v[4:5], off
	v_add_nc_u64_e32 v[6:7], 0x80, v[6:7]
	s_wait_xcnt 0x0
	v_add_nc_u64_e32 v[4:5], s[12:13], v[4:5]
	s_delay_alu instid0(VALU_DEP_2)
	v_cmp_le_i64_e32 vcc_lo, s[8:9], v[6:7]
	s_or_b32 s14, vcc_lo, s14
	s_wait_loadcnt 0x0
	ds_store_b32 v3, v8
	v_add_nc_u32_e32 v3, 0x200, v3
	s_and_not1_b32 exec_lo, exec_lo, s14
	s_cbranch_execnz .LBB21_9
.LBB21_10:
	s_or_b32 exec_lo, exec_lo, s6
	s_bfe_u32 s6, ttmp6, 0x40010
	s_bfe_u32 s12, ttmp6, 0x40004
	s_add_co_i32 s6, s6, 1
	s_wait_dscnt 0x0
	s_mul_i32 s6, ttmp7, s6
	s_barrier_signal -1
	s_add_co_i32 s12, s12, s6
	s_cmp_eq_u32 s3, 0
	s_barrier_wait -1
	s_cselect_b32 s6, ttmp7, s12
	s_delay_alu instid0(SALU_CYCLE_1)
	v_cmp_le_i64_e64 s3, s[10:11], s[6:7]
	s_and_b32 vcc_lo, exec_lo, s3
	s_cbranch_vccnz .LBB21_39
; %bb.11:
	v_mov_b32_e32 v3, -1
	s_load_b256 s[12:19], s[0:1], 0x40
	s_mul_u64 s[22:23], s[22:23], s[4:5]
	v_lshrrev_b32_e32 v32, 3, v0
	s_lshl_b64 s[22:23], s[22:23], 2
	v_add_nc_u64_e32 v[4:5], s[8:9], v[2:3]
	v_mov_b32_e32 v3, 0
	s_cmp_gt_i32 s8, 1
	s_add_nc_u64 s[20:21], s[20:21], s[22:23]
	s_cselect_b32 s22, -1, 0
	s_delay_alu instid0(VALU_DEP_1) | instskip(NEXT) | instid1(VALU_DEP_3)
	v_dual_mov_b32 v19, v3 :: v_dual_lshlrev_b32 v18, 2, v0
	v_lshrrev_b64 v[6:7], 7, v[4:5]
	v_and_b32_e32 v2, 31, v0
	v_lshlrev_b64_e32 v[10:11], 2, v[4:5]
	s_mov_b64 s[24:25], 0x3fffffffffffffff
	v_mbcnt_lo_u32_b32 v33, -1, 0
	v_cmp_lt_u64_e32 vcc_lo, s[24:25], v[4:5]
	v_cmp_eq_u32_e64 s3, 0, v2
	v_add_nc_u64_e32 v[6:7], 1, v[6:7]
	s_wait_xcnt 0x0
	v_cmp_gt_i32_e64 s0, s8, v0
	s_wait_kmcnt 0x0
	s_mul_u64 s[26:27], s[18:19], s[4:5]
	s_mul_u64 s[28:29], s[16:17], s[6:7]
	v_cmp_gt_u64_e64 s18, 0x180, v[4:5]
	s_add_nc_u64 s[4:5], s[26:27], s[28:29]
	s_lshl_b64 s[26:27], s[26:27], 2
	s_add_nc_u64 s[30:31], s[4:5], s[14:15]
	v_dual_mov_b32 v13, v7 :: v_dual_bitop2_b32 v12, -2, v6 bitop3:0x40
	v_add_nc_u64_e32 v[8:9], s[30:31], v[0:1]
	s_lshl_b64 s[28:29], s[28:29], 2
	s_lshl_b64 s[14:15], s[14:15], 2
	s_add_nc_u64 s[26:27], s[26:27], s[28:29]
	v_lshlrev_b64_e32 v[14:15], 7, v[12:13]
	s_add_nc_u64 s[14:15], s[26:27], s[14:15]
	v_cmp_lt_u64_e64 s4, 0x17f, v[4:5]
	v_lshl_add_u64 v[16:17], v[8:9], 2, s[12:13]
	s_add_nc_u64 s[12:13], s[12:13], s[14:15]
	v_mov_b32_e32 v2, v0
	v_add_nc_u64_e32 v[20:21], s[12:13], v[18:19]
	v_or_b32_e32 v14, v14, v0
	v_cmp_ne_u64_e64 s5, v[6:7], v[12:13]
	v_cmp_eq_u32_e64 s1, 0, v0
	v_and_b32_e32 v10, 0xfffffe00, v10
	v_or_b32_e32 v4, 0x80, v0
	v_lshlrev_b64_e32 v[24:25], 2, v[14:15]
	v_add_nc_u64_e32 v[22:23], 0x200, v[20:21]
	v_dual_mov_b32 v5, v3 :: v_dual_lshlrev_b32 v34, 2, v0
	v_lshl_or_b32 v35, v33, 2, 64
	v_mov_b32_e32 v36, 0x2004
	s_lshl_b64 s[14:15], s[16:17], 8
	s_mov_b64 s[16:17], 0
	s_xor_b32 s19, vcc_lo, -1
	s_branch .LBB21_13
.LBB21_12:                              ;   in Loop: Header=BB21_13 Depth=1
	s_or_b32 exec_lo, exec_lo, s23
	s_add_nc_u64 s[6:7], s[6:7], 64
	v_add_nc_u64_e32 v[20:21], s[14:15], v[20:21]
	v_cmp_ge_i64_e64 s23, s[6:7], s[10:11]
	v_add_nc_u64_e32 v[22:23], s[14:15], v[22:23]
	s_add_nc_u64 s[16:17], s[16:17], 1
	s_add_nc_u64 s[12:13], s[12:13], s[14:15]
	s_and_b32 vcc_lo, exec_lo, s23
	s_cbranch_vccnz .LBB21_39
.LBB21_13:                              ; =>This Loop Header: Depth=1
                                        ;     Child Loop BB21_15 Depth 2
                                        ;     Child Loop BB21_31 Depth 2
                                        ;     Child Loop BB21_38 Depth 2
	v_mov_b32_e32 v8, 0
	s_and_saveexec_b32 s23, s0
	s_cbranch_execz .LBB21_17
; %bb.14:                               ;   in Loop: Header=BB21_13 Depth=1
	v_mov_b64_e32 v[6:7], v[20:21]
	v_dual_mov_b32 v8, 0 :: v_dual_mov_b32 v9, v34
	v_mov_b32_e32 v26, v0
	s_mov_b32 s24, 0
.LBB21_15:                              ;   Parent Loop BB21_13 Depth=1
                                        ; =>  This Inner Loop Header: Depth=2
	global_load_b32 v27, v[6:7], off
	ds_load_b32 v28, v9
	v_add_nc_u32_e32 v26, 0x80, v26
	s_wait_xcnt 0x0
	v_add_nc_u64_e32 v[6:7], 0x200, v[6:7]
	v_add_nc_u32_e32 v9, 0x200, v9
	s_delay_alu instid0(VALU_DEP_3)
	v_cmp_le_i32_e32 vcc_lo, s8, v26
	s_or_b32 s24, vcc_lo, s24
	s_wait_loadcnt_dscnt 0x0
	v_fmac_f32_e32 v8, v28, v27
	s_and_not1_b32 exec_lo, exec_lo, s24
	s_cbranch_execnz .LBB21_15
; %bb.16:                               ;   in Loop: Header=BB21_13 Depth=1
	s_or_b32 exec_lo, exec_lo, s24
.LBB21_17:                              ;   in Loop: Header=BB21_13 Depth=1
	s_delay_alu instid0(SALU_CYCLE_1) | instskip(NEXT) | instid1(SALU_CYCLE_1)
	s_or_b32 exec_lo, exec_lo, s23
	s_and_b32 vcc_lo, exec_lo, s22
	s_cbranch_vccz .LBB21_24
; %bb.18:                               ;   in Loop: Header=BB21_13 Depth=1
	v_cmp_ne_u32_e32 vcc_lo, 31, v33
	v_add_co_ci_u32_e64 v6, null, 0, v33, vcc_lo
	v_cmp_gt_u32_e32 vcc_lo, 30, v33
	s_delay_alu instid0(VALU_DEP_2)
	v_lshlrev_b32_e32 v6, 2, v6
	v_cndmask_b32_e64 v7, 0, 2, vcc_lo
	v_cmp_gt_u32_e32 vcc_lo, 28, v33
	ds_bpermute_b32 v6, v6, v8
	v_add_lshl_u32 v7, v7, v33, 2
	v_cndmask_b32_e64 v9, 0, 4, vcc_lo
	v_cmp_gt_u32_e32 vcc_lo, 24, v33
	s_delay_alu instid0(VALU_DEP_2)
	v_add_lshl_u32 v9, v9, v33, 2
	s_wait_dscnt 0x0
	v_add_f32_e32 v6, v8, v6
	ds_bpermute_b32 v7, v7, v6
	s_wait_dscnt 0x0
	v_add_f32_e32 v6, v6, v7
	ds_bpermute_b32 v7, v9, v6
	v_cndmask_b32_e64 v9, 0, 8, vcc_lo
	s_wait_dscnt 0x0
	v_add_f32_e32 v6, v6, v7
	s_delay_alu instid0(VALU_DEP_2)
	v_add_lshl_u32 v7, v9, v33, 2
	ds_bpermute_b32 v7, v7, v6
	s_wait_dscnt 0x0
	v_add_f32_e32 v6, v6, v7
	ds_bpermute_b32 v7, v35, v6
	s_wait_dscnt 0x0
	v_add_f32_e32 v7, v6, v7
	s_and_saveexec_b32 s23, s3
; %bb.19:                               ;   in Loop: Header=BB21_13 Depth=1
	ds_store_b32 v32, v7 offset:8192
; %bb.20:                               ;   in Loop: Header=BB21_13 Depth=1
	s_or_b32 exec_lo, exec_lo, s23
	s_mov_b32 s24, 0
	s_mov_b32 s23, 0
	s_wait_dscnt 0x0
	s_barrier_signal -1
	s_barrier_wait -1
                                        ; implicit-def: $vgpr6
	s_and_saveexec_b32 s25, s1
	s_delay_alu instid0(SALU_CYCLE_1)
	s_xor_b32 s25, exec_lo, s25
	s_cbranch_execz .LBB21_22
; %bb.21:                               ;   in Loop: Header=BB21_13 Depth=1
	ds_load_2addr_b32 v[26:27], v36 offset1:1
	ds_load_b32 v6, v3 offset:8204
	s_mov_b32 s23, exec_lo
	s_wait_dscnt 0x1
	v_add_f32_e32 v7, v7, v26
	s_delay_alu instid0(VALU_DEP_1) | instskip(SKIP_1) | instid1(VALU_DEP_1)
	v_add_f32_e32 v7, v7, v27
	s_wait_dscnt 0x0
	v_add_f32_e32 v6, v7, v6
.LBB21_22:                              ;   in Loop: Header=BB21_13 Depth=1
	s_or_b32 exec_lo, exec_lo, s25
	s_delay_alu instid0(SALU_CYCLE_1)
	s_and_b32 vcc_lo, exec_lo, s24
	s_cbranch_vccnz .LBB21_25
.LBB21_23:                              ;   in Loop: Header=BB21_13 Depth=1
	s_delay_alu instid0(VALU_DEP_1)
	v_mov_b32_e32 v8, v6
	s_and_saveexec_b32 s24, s23
	s_cbranch_execnz .LBB21_26
	s_branch .LBB21_27
.LBB21_24:                              ;   in Loop: Header=BB21_13 Depth=1
	s_mov_b32 s23, 0
                                        ; implicit-def: $vgpr6
	s_cbranch_execz .LBB21_23
.LBB21_25:                              ;   in Loop: Header=BB21_13 Depth=1
	s_and_not1_b32 s23, s23, exec_lo
	s_and_b32 s24, s1, exec_lo
	s_delay_alu instid0(SALU_CYCLE_1) | instskip(NEXT) | instid1(SALU_CYCLE_1)
	s_or_b32 s23, s23, s24
	s_and_saveexec_b32 s24, s23
.LBB21_26:                              ;   in Loop: Header=BB21_13 Depth=1
	ds_store_b32 v3, v8 offset:8192
.LBB21_27:                              ;   in Loop: Header=BB21_13 Depth=1
	s_or_b32 exec_lo, exec_lo, s24
	s_wait_dscnt 0x0
	s_barrier_signal -1
	s_barrier_wait -1
	s_and_saveexec_b32 s23, s2
	s_cbranch_execz .LBB21_12
; %bb.28:                               ;   in Loop: Header=BB21_13 Depth=1
	global_load_b32 v6, v3, s[20:21]
	ds_load_b32 v8, v3 offset:8192
	s_mov_b32 s25, s18
	s_wait_loadcnt 0x0
	v_xor_b32_e32 v9, 0x80000000, v6
	v_mov_b64_e32 v[6:7], v[0:1]
	s_wait_dscnt 0x0
	s_delay_alu instid0(VALU_DEP_2)
	v_mul_f32_e32 v26, v8, v9
	v_mov_b64_e32 v[8:9], v[18:19]
	s_wait_xcnt 0x0
	s_and_saveexec_b32 s24, s4
	s_cbranch_execz .LBB21_36
; %bb.29:                               ;   in Loop: Header=BB21_13 Depth=1
	v_mad_nc_u64_u32 v[6:7], s14, s16, v[16:17]
	s_mul_i32 s25, s15, s16
	s_mul_i32 s26, s14, s17
	s_delay_alu instid0(VALU_DEP_1) | instid1(SALU_CYCLE_1)
	v_add3_u32 v7, s26, s25, v7
	s_mov_b32 s26, -1
	s_delay_alu instid0(VALU_DEP_1) | instskip(NEXT) | instid1(VALU_DEP_1)
	v_add_nc_u64_e32 v[8:9], v[6:7], v[10:11]
	v_cmp_ge_u64_e32 vcc_lo, v[8:9], v[6:7]
	v_mov_b64_e32 v[6:7], v[0:1]
	v_mov_b64_e32 v[8:9], v[18:19]
	s_and_b32 s27, vcc_lo, s19
	s_delay_alu instid0(SALU_CYCLE_1)
	s_and_saveexec_b32 s25, s27
	s_cbranch_execz .LBB21_35
; %bb.30:                               ;   in Loop: Header=BB21_13 Depth=1
	v_mov_b64_e32 v[8:9], v[4:5]
	v_mov_b64_e32 v[28:29], v[12:13]
	;; [unrolled: 1-line block ×4, first 2 shown]
	v_mov_b32_e32 v27, v26
	s_mov_b32 s26, 0
.LBB21_31:                              ;   Parent Loop BB21_13 Depth=1
                                        ; =>  This Inner Loop Header: Depth=2
	s_clause 0x1
	global_load_b32 v38, v[30:31], off offset:-512
	global_load_b32 v39, v[30:31], off
	v_dual_lshlrev_b32 v37, 2, v6 :: v_dual_lshlrev_b32 v41, 2, v8
	v_add_nc_u64_e32 v[28:29], -2, v[28:29]
	v_add_nc_u64_e32 v[8:9], 0x100, v[8:9]
	ds_load_b32 v40, v37
	ds_load_b32 v41, v41
	v_add_nc_u64_e32 v[6:7], 0x100, v[6:7]
	v_cmp_eq_u64_e32 vcc_lo, 0, v[28:29]
	s_or_b32 s26, vcc_lo, s26
	s_wait_loadcnt_dscnt 0x0
	v_pk_fma_f32 v[38:39], v[26:27], v[40:41], v[38:39]
	s_clause 0x1
	global_store_b32 v[30:31], v38, off offset:-512
	global_store_b32 v[30:31], v39, off
	s_wait_xcnt 0x0
	v_add_nc_u64_e32 v[30:31], 0x400, v[30:31]
	s_and_not1_b32 exec_lo, exec_lo, s26
	s_cbranch_execnz .LBB21_31
; %bb.32:                               ;   in Loop: Header=BB21_13 Depth=1
	s_or_b32 exec_lo, exec_lo, s26
	s_mov_b32 s26, 0
	s_and_saveexec_b32 s27, s5
; %bb.33:                               ;   in Loop: Header=BB21_13 Depth=1
	s_mov_b32 s26, exec_lo
; %bb.34:                               ;   in Loop: Header=BB21_13 Depth=1
	s_or_b32 exec_lo, exec_lo, s27
	v_mov_b64_e32 v[6:7], v[14:15]
	v_mov_b64_e32 v[8:9], v[24:25]
	s_or_not1_b32 s26, s26, exec_lo
.LBB21_35:                              ;   in Loop: Header=BB21_13 Depth=1
	s_or_b32 exec_lo, exec_lo, s25
	s_delay_alu instid0(SALU_CYCLE_1) | instskip(SKIP_1) | instid1(SALU_CYCLE_1)
	s_and_not1_b32 s25, s18, exec_lo
	s_and_b32 s26, s26, exec_lo
	s_or_b32 s25, s25, s26
.LBB21_36:                              ;   in Loop: Header=BB21_13 Depth=1
	s_or_b32 exec_lo, exec_lo, s24
	s_delay_alu instid0(SALU_CYCLE_1)
	s_and_b32 exec_lo, exec_lo, s25
	s_cbranch_execz .LBB21_12
; %bb.37:                               ;   in Loop: Header=BB21_13 Depth=1
	v_add_nc_u64_e32 v[8:9], s[12:13], v[8:9]
	v_lshlrev_b32_e32 v27, 2, v6
	s_mov_b32 s24, 0
.LBB21_38:                              ;   Parent Loop BB21_13 Depth=1
                                        ; =>  This Inner Loop Header: Depth=2
	global_load_b32 v28, v[8:9], off
	ds_load_b32 v29, v27
	v_add_nc_u64_e32 v[6:7], 0x80, v[6:7]
	v_add_nc_u32_e32 v27, 0x200, v27
	s_delay_alu instid0(VALU_DEP_2)
	v_cmp_le_i64_e32 vcc_lo, s[8:9], v[6:7]
	s_or_b32 s24, vcc_lo, s24
	s_wait_loadcnt_dscnt 0x0
	v_fmac_f32_e32 v28, v26, v29
	global_store_b32 v[8:9], v28, off
	s_wait_xcnt 0x0
	v_add_nc_u64_e32 v[8:9], 0x200, v[8:9]
	s_and_not1_b32 exec_lo, exec_lo, s24
	s_cbranch_execnz .LBB21_38
	s_branch .LBB21_12
.LBB21_39:
	s_endpgm
	.section	.rodata,"a",@progbits
	.p2align	6, 0x0
	.amdhsa_kernel _ZN9rocsolver6v33100L22larf_left_kernel_smallILi128EflPfEEvT1_S3_T2_lS3_lPKT0_lS4_lS3_l
		.amdhsa_group_segment_fixed_size 8704
		.amdhsa_private_segment_fixed_size 0
		.amdhsa_kernarg_size 96
		.amdhsa_user_sgpr_count 2
		.amdhsa_user_sgpr_dispatch_ptr 0
		.amdhsa_user_sgpr_queue_ptr 0
		.amdhsa_user_sgpr_kernarg_segment_ptr 1
		.amdhsa_user_sgpr_dispatch_id 0
		.amdhsa_user_sgpr_kernarg_preload_length 0
		.amdhsa_user_sgpr_kernarg_preload_offset 0
		.amdhsa_user_sgpr_private_segment_size 0
		.amdhsa_wavefront_size32 1
		.amdhsa_uses_dynamic_stack 0
		.amdhsa_enable_private_segment 0
		.amdhsa_system_sgpr_workgroup_id_x 1
		.amdhsa_system_sgpr_workgroup_id_y 1
		.amdhsa_system_sgpr_workgroup_id_z 0
		.amdhsa_system_sgpr_workgroup_info 0
		.amdhsa_system_vgpr_workitem_id 0
		.amdhsa_next_free_vgpr 42
		.amdhsa_next_free_sgpr 36
		.amdhsa_named_barrier_count 0
		.amdhsa_reserve_vcc 1
		.amdhsa_float_round_mode_32 0
		.amdhsa_float_round_mode_16_64 0
		.amdhsa_float_denorm_mode_32 3
		.amdhsa_float_denorm_mode_16_64 3
		.amdhsa_fp16_overflow 0
		.amdhsa_memory_ordered 1
		.amdhsa_forward_progress 1
		.amdhsa_inst_pref_size 16
		.amdhsa_round_robin_scheduling 0
		.amdhsa_exception_fp_ieee_invalid_op 0
		.amdhsa_exception_fp_denorm_src 0
		.amdhsa_exception_fp_ieee_div_zero 0
		.amdhsa_exception_fp_ieee_overflow 0
		.amdhsa_exception_fp_ieee_underflow 0
		.amdhsa_exception_fp_ieee_inexact 0
		.amdhsa_exception_int_div_zero 0
	.end_amdhsa_kernel
	.section	.text._ZN9rocsolver6v33100L22larf_left_kernel_smallILi128EflPfEEvT1_S3_T2_lS3_lPKT0_lS4_lS3_l,"axG",@progbits,_ZN9rocsolver6v33100L22larf_left_kernel_smallILi128EflPfEEvT1_S3_T2_lS3_lPKT0_lS4_lS3_l,comdat
.Lfunc_end21:
	.size	_ZN9rocsolver6v33100L22larf_left_kernel_smallILi128EflPfEEvT1_S3_T2_lS3_lPKT0_lS4_lS3_l, .Lfunc_end21-_ZN9rocsolver6v33100L22larf_left_kernel_smallILi128EflPfEEvT1_S3_T2_lS3_lPKT0_lS4_lS3_l
                                        ; -- End function
	.set _ZN9rocsolver6v33100L22larf_left_kernel_smallILi128EflPfEEvT1_S3_T2_lS3_lPKT0_lS4_lS3_l.num_vgpr, 42
	.set _ZN9rocsolver6v33100L22larf_left_kernel_smallILi128EflPfEEvT1_S3_T2_lS3_lPKT0_lS4_lS3_l.num_agpr, 0
	.set _ZN9rocsolver6v33100L22larf_left_kernel_smallILi128EflPfEEvT1_S3_T2_lS3_lPKT0_lS4_lS3_l.numbered_sgpr, 36
	.set _ZN9rocsolver6v33100L22larf_left_kernel_smallILi128EflPfEEvT1_S3_T2_lS3_lPKT0_lS4_lS3_l.num_named_barrier, 0
	.set _ZN9rocsolver6v33100L22larf_left_kernel_smallILi128EflPfEEvT1_S3_T2_lS3_lPKT0_lS4_lS3_l.private_seg_size, 0
	.set _ZN9rocsolver6v33100L22larf_left_kernel_smallILi128EflPfEEvT1_S3_T2_lS3_lPKT0_lS4_lS3_l.uses_vcc, 1
	.set _ZN9rocsolver6v33100L22larf_left_kernel_smallILi128EflPfEEvT1_S3_T2_lS3_lPKT0_lS4_lS3_l.uses_flat_scratch, 0
	.set _ZN9rocsolver6v33100L22larf_left_kernel_smallILi128EflPfEEvT1_S3_T2_lS3_lPKT0_lS4_lS3_l.has_dyn_sized_stack, 0
	.set _ZN9rocsolver6v33100L22larf_left_kernel_smallILi128EflPfEEvT1_S3_T2_lS3_lPKT0_lS4_lS3_l.has_recursion, 0
	.set _ZN9rocsolver6v33100L22larf_left_kernel_smallILi128EflPfEEvT1_S3_T2_lS3_lPKT0_lS4_lS3_l.has_indirect_call, 0
	.section	.AMDGPU.csdata,"",@progbits
; Kernel info:
; codeLenInByte = 1932
; TotalNumSgprs: 38
; NumVgprs: 42
; ScratchSize: 0
; MemoryBound: 0
; FloatMode: 240
; IeeeMode: 1
; LDSByteSize: 8704 bytes/workgroup (compile time only)
; SGPRBlocks: 0
; VGPRBlocks: 2
; NumSGPRsForWavesPerEU: 38
; NumVGPRsForWavesPerEU: 42
; NamedBarCnt: 0
; Occupancy: 16
; WaveLimiterHint : 1
; COMPUTE_PGM_RSRC2:SCRATCH_EN: 0
; COMPUTE_PGM_RSRC2:USER_SGPR: 2
; COMPUTE_PGM_RSRC2:TRAP_HANDLER: 0
; COMPUTE_PGM_RSRC2:TGID_X_EN: 1
; COMPUTE_PGM_RSRC2:TGID_Y_EN: 1
; COMPUTE_PGM_RSRC2:TGID_Z_EN: 0
; COMPUTE_PGM_RSRC2:TIDIG_COMP_CNT: 0
	.section	.text._ZN9rocsolver6v33100L22larf_left_kernel_smallILi256EflPfEEvT1_S3_T2_lS3_lPKT0_lS4_lS3_l,"axG",@progbits,_ZN9rocsolver6v33100L22larf_left_kernel_smallILi256EflPfEEvT1_S3_T2_lS3_lPKT0_lS4_lS3_l,comdat
	.globl	_ZN9rocsolver6v33100L22larf_left_kernel_smallILi256EflPfEEvT1_S3_T2_lS3_lPKT0_lS4_lS3_l ; -- Begin function _ZN9rocsolver6v33100L22larf_left_kernel_smallILi256EflPfEEvT1_S3_T2_lS3_lPKT0_lS4_lS3_l
	.p2align	8
	.type	_ZN9rocsolver6v33100L22larf_left_kernel_smallILi256EflPfEEvT1_S3_T2_lS3_lPKT0_lS4_lS3_l,@function
_ZN9rocsolver6v33100L22larf_left_kernel_smallILi256EflPfEEvT1_S3_T2_lS3_lPKT0_lS4_lS3_l: ; @_ZN9rocsolver6v33100L22larf_left_kernel_smallILi256EflPfEEvT1_S3_T2_lS3_lPKT0_lS4_lS3_l
; %bb.0:
	s_load_b512 s[8:23], s[0:1], 0x0
	s_mov_b64 s[24:25], 0
	s_wait_kmcnt 0x0
	v_cmp_gt_i64_e64 s2, s[16:17], 0
	s_and_b32 vcc_lo, exec_lo, s2
	s_cbranch_vccnz .LBB22_2
; %bb.1:
	s_sub_nc_u64 s[2:3], 1, s[8:9]
	s_delay_alu instid0(SALU_CYCLE_1)
	s_mul_u64 s[24:25], s[16:17], s[2:3]
.LBB22_2:
	s_bfe_u32 s2, ttmp6, 0x4000c
	v_mov_b32_e32 v1, 0
	s_add_co_i32 s2, s2, 1
	s_and_b32 s4, ttmp6, 15
	s_mul_i32 s2, ttmp9, s2
	s_getreg_b32 s3, hwreg(HW_REG_IB_STS2, 6, 4)
	s_add_co_i32 s4, s4, s2
	v_cmp_gt_i64_e64 s2, s[8:9], v[0:1]
	v_not_b32_e32 v2, v0
	s_cmp_eq_u32 s3, 0
	s_mov_b32 s7, 0
	s_cselect_b32 s4, ttmp9, s4
	s_mov_b32 s5, s7
	s_and_saveexec_b32 s6, s2
	s_cbranch_execz .LBB22_10
; %bb.3:
	v_mov_b32_e32 v3, -1
	v_mov_b64_e32 v[6:7], v[0:1]
	s_mul_u64 s[18:19], s[18:19], s[4:5]
	s_mov_b32 s26, -1
	s_mov_b32 s30, exec_lo
	v_add_nc_u64_e32 v[4:5], s[8:9], v[2:3]
	s_delay_alu instid0(VALU_DEP_1)
	v_cmpx_lt_u64_e32 0xff, v[4:5]
	s_cbranch_execz .LBB22_7
; %bb.4:
	v_lshrrev_b64 v[4:5], 8, v[4:5]
	s_lshl_b64 s[26:27], s[18:19], 2
	s_lshl_b64 s[28:29], s[14:15], 2
	s_add_nc_u64 s[26:27], s[12:13], s[26:27]
	v_or_b32_e32 v10, 0x100, v0
	s_lshl_b64 s[34:35], s[24:25], 2
	s_add_nc_u64 s[26:27], s[26:27], s[28:29]
	v_add_nc_u64_e32 v[4:5], 1, v[4:5]
	v_mov_b32_e32 v7, 0
	s_add_nc_u64 s[26:27], s[26:27], s[34:35]
	s_mov_b32 s28, s16
	s_mov_b32 s29, s17
	;; [unrolled: 1-line block ×3, first 2 shown]
	s_delay_alu instid0(VALU_DEP_2) | instskip(SKIP_1) | instid1(VALU_DEP_1)
	v_dual_mov_b32 v6, v0 :: v_dual_mov_b32 v9, v5
	v_dual_mov_b32 v11, v7 :: v_dual_bitop2_b32 v8, -2, v4 bitop3:0x40
	v_mov_b64_e32 v[12:13], v[8:9]
.LBB22_5:                               ; =>This Inner Loop Header: Depth=1
	s_delay_alu instid0(VALU_DEP_3) | instskip(NEXT) | instid1(VALU_DEP_3)
	v_mul_u64_e32 v[14:15], s[16:17], v[6:7]
	v_mul_u64_e32 v[16:17], s[28:29], v[10:11]
	s_delay_alu instid0(VALU_DEP_3) | instskip(NEXT) | instid1(VALU_DEP_1)
	v_add_nc_u64_e32 v[12:13], -2, v[12:13]
	v_cmp_eq_u64_e32 vcc_lo, 0, v[12:13]
	s_or_b32 s31, vcc_lo, s31
	s_delay_alu instid0(VALU_DEP_4) | instskip(NEXT) | instid1(VALU_DEP_4)
	v_lshl_add_u64 v[14:15], v[14:15], 2, s[26:27]
	v_lshl_add_u64 v[16:17], v[16:17], 2, s[26:27]
	s_clause 0x1
	global_load_b32 v3, v[14:15], off
	global_load_b32 v18, v[16:17], off
	s_wait_xcnt 0x1
	v_lshlrev_b32_e32 v14, 2, v6
	v_lshlrev_b32_e32 v15, 2, v10
	v_add_nc_u64_e32 v[10:11], 0x200, v[10:11]
	v_add_nc_u64_e32 v[6:7], 0x200, v[6:7]
	s_wait_loadcnt 0x1
	ds_store_b32 v14, v3
	s_wait_loadcnt 0x0
	ds_store_b32 v15, v18
	s_wait_xcnt 0x0
	s_and_not1_b32 exec_lo, exec_lo, s31
	s_cbranch_execnz .LBB22_5
; %bb.6:
	s_or_b32 exec_lo, exec_lo, s31
	v_lshlrev_b64_e32 v[6:7], 8, v[8:9]
	v_cmp_ne_u64_e32 vcc_lo, v[4:5], v[8:9]
	s_delay_alu instid0(VALU_DEP_2)
	v_or_b32_e32 v6, v6, v0
	s_or_not1_b32 s26, vcc_lo, exec_lo
.LBB22_7:
	s_or_b32 exec_lo, exec_lo, s30
	s_delay_alu instid0(SALU_CYCLE_1)
	s_and_b32 exec_lo, exec_lo, s26
	s_cbranch_execz .LBB22_10
; %bb.8:
	v_mul_u64_e32 v[4:5], s[16:17], v[6:7]
	s_lshl_b64 s[14:15], s[14:15], 2
	s_lshl_b64 s[24:25], s[24:25], 2
	s_add_nc_u64 s[12:13], s[12:13], s[14:15]
	s_lshl_b64 s[14:15], s[18:19], 2
	s_add_nc_u64 s[12:13], s[12:13], s[24:25]
	v_lshlrev_b32_e32 v3, 2, v6
	s_add_nc_u64 s[12:13], s[12:13], s[14:15]
	s_mov_b32 s14, 0
	s_delay_alu instid0(VALU_DEP_2)
	v_lshl_add_u64 v[4:5], v[4:5], 2, s[12:13]
	s_lshl_b64 s[12:13], s[16:17], 10
.LBB22_9:                               ; =>This Inner Loop Header: Depth=1
	global_load_b32 v8, v[4:5], off
	v_add_nc_u64_e32 v[6:7], 0x100, v[6:7]
	s_wait_xcnt 0x0
	v_add_nc_u64_e32 v[4:5], s[12:13], v[4:5]
	s_delay_alu instid0(VALU_DEP_2)
	v_cmp_le_i64_e32 vcc_lo, s[8:9], v[6:7]
	s_or_b32 s14, vcc_lo, s14
	s_wait_loadcnt 0x0
	ds_store_b32 v3, v8
	v_add_nc_u32_e32 v3, 0x400, v3
	s_and_not1_b32 exec_lo, exec_lo, s14
	s_cbranch_execnz .LBB22_9
.LBB22_10:
	s_or_b32 exec_lo, exec_lo, s6
	s_bfe_u32 s6, ttmp6, 0x40010
	s_bfe_u32 s12, ttmp6, 0x40004
	s_add_co_i32 s6, s6, 1
	s_wait_dscnt 0x0
	s_mul_i32 s6, ttmp7, s6
	s_barrier_signal -1
	s_add_co_i32 s12, s12, s6
	s_cmp_eq_u32 s3, 0
	s_barrier_wait -1
	s_cselect_b32 s6, ttmp7, s12
	s_delay_alu instid0(SALU_CYCLE_1)
	v_cmp_le_i64_e64 s3, s[10:11], s[6:7]
	s_and_b32 vcc_lo, exec_lo, s3
	s_cbranch_vccnz .LBB22_39
; %bb.11:
	v_mov_b32_e32 v3, -1
	s_load_b256 s[12:19], s[0:1], 0x40
	s_mul_u64 s[22:23], s[22:23], s[4:5]
	v_lshrrev_b32_e32 v32, 3, v0
	s_lshl_b64 s[22:23], s[22:23], 2
	v_add_nc_u64_e32 v[4:5], s[8:9], v[2:3]
	v_mov_b32_e32 v3, 0
	s_cmp_gt_i32 s8, 1
	s_add_nc_u64 s[20:21], s[20:21], s[22:23]
	s_cselect_b32 s22, -1, 0
	s_delay_alu instid0(VALU_DEP_1) | instskip(NEXT) | instid1(VALU_DEP_3)
	v_dual_mov_b32 v19, v3 :: v_dual_lshlrev_b32 v18, 2, v0
	v_lshrrev_b64 v[6:7], 8, v[4:5]
	v_and_b32_e32 v2, 31, v0
	v_lshlrev_b64_e32 v[10:11], 2, v[4:5]
	s_mov_b64 s[24:25], 0x3fffffffffffffff
	v_mbcnt_lo_u32_b32 v33, -1, 0
	v_cmp_lt_u64_e32 vcc_lo, s[24:25], v[4:5]
	v_cmp_eq_u32_e64 s3, 0, v2
	v_add_nc_u64_e32 v[6:7], 1, v[6:7]
	s_wait_xcnt 0x0
	v_cmp_gt_i32_e64 s0, s8, v0
	s_wait_kmcnt 0x0
	s_mul_u64 s[26:27], s[18:19], s[4:5]
	s_mul_u64 s[28:29], s[16:17], s[6:7]
	v_cmp_gt_u64_e64 s18, 0x300, v[4:5]
	s_add_nc_u64 s[4:5], s[26:27], s[28:29]
	s_lshl_b64 s[26:27], s[26:27], 2
	s_add_nc_u64 s[30:31], s[4:5], s[14:15]
	v_dual_mov_b32 v13, v7 :: v_dual_bitop2_b32 v12, -2, v6 bitop3:0x40
	v_add_nc_u64_e32 v[8:9], s[30:31], v[0:1]
	s_lshl_b64 s[28:29], s[28:29], 2
	s_lshl_b64 s[14:15], s[14:15], 2
	s_add_nc_u64 s[26:27], s[26:27], s[28:29]
	v_lshlrev_b64_e32 v[14:15], 8, v[12:13]
	s_add_nc_u64 s[14:15], s[26:27], s[14:15]
	v_cmp_lt_u64_e64 s4, 0x2ff, v[4:5]
	v_lshl_add_u64 v[16:17], v[8:9], 2, s[12:13]
	s_add_nc_u64 s[12:13], s[12:13], s[14:15]
	v_mov_b32_e32 v2, v0
	v_add_nc_u64_e32 v[20:21], s[12:13], v[18:19]
	v_or_b32_e32 v14, v14, v0
	v_cmp_ne_u64_e64 s5, v[6:7], v[12:13]
	v_cmp_eq_u32_e64 s1, 0, v0
	v_and_b32_e32 v10, 0xfffffc00, v10
	v_or_b32_e32 v4, 0x100, v0
	v_lshlrev_b64_e32 v[24:25], 2, v[14:15]
	v_add_nc_u64_e32 v[22:23], 0x400, v[20:21]
	v_dual_mov_b32 v5, v3 :: v_dual_lshlrev_b32 v34, 2, v0
	v_lshl_or_b32 v35, v33, 2, 64
	v_mov_b32_e32 v36, 0x2004
	v_mov_b32_e32 v37, 0x200c
	;; [unrolled: 1-line block ×3, first 2 shown]
	s_lshl_b64 s[14:15], s[16:17], 8
	s_mov_b64 s[16:17], 0
	s_xor_b32 s19, vcc_lo, -1
	s_branch .LBB22_13
.LBB22_12:                              ;   in Loop: Header=BB22_13 Depth=1
	s_or_b32 exec_lo, exec_lo, s23
	s_add_nc_u64 s[6:7], s[6:7], 64
	v_add_nc_u64_e32 v[20:21], s[14:15], v[20:21]
	v_cmp_ge_i64_e64 s23, s[6:7], s[10:11]
	v_add_nc_u64_e32 v[22:23], s[14:15], v[22:23]
	s_add_nc_u64 s[16:17], s[16:17], 1
	s_add_nc_u64 s[12:13], s[12:13], s[14:15]
	s_and_b32 vcc_lo, exec_lo, s23
	s_cbranch_vccnz .LBB22_39
.LBB22_13:                              ; =>This Loop Header: Depth=1
                                        ;     Child Loop BB22_15 Depth 2
                                        ;     Child Loop BB22_31 Depth 2
	;; [unrolled: 1-line block ×3, first 2 shown]
	v_mov_b32_e32 v8, 0
	s_and_saveexec_b32 s23, s0
	s_cbranch_execz .LBB22_17
; %bb.14:                               ;   in Loop: Header=BB22_13 Depth=1
	v_mov_b64_e32 v[6:7], v[20:21]
	v_dual_mov_b32 v8, 0 :: v_dual_mov_b32 v9, v34
	v_mov_b32_e32 v26, v0
	s_mov_b32 s24, 0
.LBB22_15:                              ;   Parent Loop BB22_13 Depth=1
                                        ; =>  This Inner Loop Header: Depth=2
	global_load_b32 v27, v[6:7], off
	ds_load_b32 v28, v9
	v_add_nc_u32_e32 v26, 0x100, v26
	s_wait_xcnt 0x0
	v_add_nc_u64_e32 v[6:7], 0x400, v[6:7]
	v_add_nc_u32_e32 v9, 0x400, v9
	s_delay_alu instid0(VALU_DEP_3)
	v_cmp_le_i32_e32 vcc_lo, s8, v26
	s_or_b32 s24, vcc_lo, s24
	s_wait_loadcnt_dscnt 0x0
	v_fmac_f32_e32 v8, v28, v27
	s_and_not1_b32 exec_lo, exec_lo, s24
	s_cbranch_execnz .LBB22_15
; %bb.16:                               ;   in Loop: Header=BB22_13 Depth=1
	s_or_b32 exec_lo, exec_lo, s24
.LBB22_17:                              ;   in Loop: Header=BB22_13 Depth=1
	s_delay_alu instid0(SALU_CYCLE_1) | instskip(NEXT) | instid1(SALU_CYCLE_1)
	s_or_b32 exec_lo, exec_lo, s23
	s_and_b32 vcc_lo, exec_lo, s22
	s_cbranch_vccz .LBB22_24
; %bb.18:                               ;   in Loop: Header=BB22_13 Depth=1
	v_cmp_ne_u32_e32 vcc_lo, 31, v33
	v_add_co_ci_u32_e64 v6, null, 0, v33, vcc_lo
	v_cmp_gt_u32_e32 vcc_lo, 30, v33
	s_delay_alu instid0(VALU_DEP_2)
	v_lshlrev_b32_e32 v6, 2, v6
	v_cndmask_b32_e64 v7, 0, 2, vcc_lo
	v_cmp_gt_u32_e32 vcc_lo, 28, v33
	ds_bpermute_b32 v6, v6, v8
	v_add_lshl_u32 v7, v7, v33, 2
	v_cndmask_b32_e64 v9, 0, 4, vcc_lo
	v_cmp_gt_u32_e32 vcc_lo, 24, v33
	s_delay_alu instid0(VALU_DEP_2)
	v_add_lshl_u32 v9, v9, v33, 2
	s_wait_dscnt 0x0
	v_add_f32_e32 v6, v8, v6
	ds_bpermute_b32 v7, v7, v6
	s_wait_dscnt 0x0
	v_add_f32_e32 v6, v6, v7
	ds_bpermute_b32 v7, v9, v6
	v_cndmask_b32_e64 v9, 0, 8, vcc_lo
	s_wait_dscnt 0x0
	v_add_f32_e32 v6, v6, v7
	s_delay_alu instid0(VALU_DEP_2)
	v_add_lshl_u32 v7, v9, v33, 2
	ds_bpermute_b32 v7, v7, v6
	s_wait_dscnt 0x0
	v_add_f32_e32 v6, v6, v7
	ds_bpermute_b32 v7, v35, v6
	s_wait_dscnt 0x0
	v_add_f32_e32 v6, v6, v7
	s_and_saveexec_b32 s23, s3
; %bb.19:                               ;   in Loop: Header=BB22_13 Depth=1
	ds_store_b32 v32, v6 offset:8192
; %bb.20:                               ;   in Loop: Header=BB22_13 Depth=1
	s_or_b32 exec_lo, exec_lo, s23
	s_mov_b32 s24, 0
	s_mov_b32 s23, 0
	s_wait_dscnt 0x0
	s_barrier_signal -1
	s_barrier_wait -1
                                        ; implicit-def: $vgpr7
	s_and_saveexec_b32 s25, s1
	s_delay_alu instid0(SALU_CYCLE_1)
	s_xor_b32 s25, exec_lo, s25
	s_cbranch_execz .LBB22_22
; %bb.21:                               ;   in Loop: Header=BB22_13 Depth=1
	ds_load_2addr_b32 v[26:27], v36 offset1:1
	ds_load_2addr_b32 v[28:29], v37 offset1:1
	;; [unrolled: 1-line block ×3, first 2 shown]
	ds_load_b32 v7, v3 offset:8220
	s_mov_b32 s23, exec_lo
	s_wait_dscnt 0x3
	v_add_f32_e32 v6, v6, v26
	s_delay_alu instid0(VALU_DEP_1) | instskip(SKIP_1) | instid1(VALU_DEP_1)
	v_add_f32_e32 v6, v6, v27
	s_wait_dscnt 0x2
	v_add_f32_e32 v6, v6, v28
	s_delay_alu instid0(VALU_DEP_1) | instskip(SKIP_1) | instid1(VALU_DEP_1)
	v_add_f32_e32 v6, v6, v29
	;; [unrolled: 4-line block ×3, first 2 shown]
	s_wait_dscnt 0x0
	v_add_f32_e32 v7, v6, v7
.LBB22_22:                              ;   in Loop: Header=BB22_13 Depth=1
	s_or_b32 exec_lo, exec_lo, s25
	s_delay_alu instid0(SALU_CYCLE_1)
	s_and_b32 vcc_lo, exec_lo, s24
	s_cbranch_vccnz .LBB22_25
.LBB22_23:                              ;   in Loop: Header=BB22_13 Depth=1
	s_delay_alu instid0(VALU_DEP_1)
	v_mov_b32_e32 v8, v7
	s_and_saveexec_b32 s24, s23
	s_cbranch_execnz .LBB22_26
	s_branch .LBB22_27
.LBB22_24:                              ;   in Loop: Header=BB22_13 Depth=1
	s_mov_b32 s23, 0
                                        ; implicit-def: $vgpr7
	s_cbranch_execz .LBB22_23
.LBB22_25:                              ;   in Loop: Header=BB22_13 Depth=1
	s_and_not1_b32 s23, s23, exec_lo
	s_and_b32 s24, s1, exec_lo
	s_delay_alu instid0(SALU_CYCLE_1) | instskip(NEXT) | instid1(SALU_CYCLE_1)
	s_or_b32 s23, s23, s24
	s_and_saveexec_b32 s24, s23
.LBB22_26:                              ;   in Loop: Header=BB22_13 Depth=1
	ds_store_b32 v3, v8 offset:8192
.LBB22_27:                              ;   in Loop: Header=BB22_13 Depth=1
	s_or_b32 exec_lo, exec_lo, s24
	s_wait_dscnt 0x0
	s_barrier_signal -1
	s_barrier_wait -1
	s_and_saveexec_b32 s23, s2
	s_cbranch_execz .LBB22_12
; %bb.28:                               ;   in Loop: Header=BB22_13 Depth=1
	global_load_b32 v6, v3, s[20:21]
	ds_load_b32 v8, v3 offset:8192
	s_mov_b32 s25, s18
	s_wait_loadcnt 0x0
	v_xor_b32_e32 v9, 0x80000000, v6
	v_mov_b64_e32 v[6:7], v[0:1]
	s_wait_dscnt 0x0
	s_delay_alu instid0(VALU_DEP_2)
	v_mul_f32_e32 v26, v8, v9
	v_mov_b64_e32 v[8:9], v[18:19]
	s_wait_xcnt 0x0
	s_and_saveexec_b32 s24, s4
	s_cbranch_execz .LBB22_36
; %bb.29:                               ;   in Loop: Header=BB22_13 Depth=1
	v_mad_nc_u64_u32 v[6:7], s14, s16, v[16:17]
	s_mul_i32 s25, s15, s16
	s_mul_i32 s26, s14, s17
	s_delay_alu instid0(VALU_DEP_1) | instid1(SALU_CYCLE_1)
	v_add3_u32 v7, s26, s25, v7
	s_mov_b32 s26, -1
	s_delay_alu instid0(VALU_DEP_1) | instskip(NEXT) | instid1(VALU_DEP_1)
	v_add_nc_u64_e32 v[8:9], v[6:7], v[10:11]
	v_cmp_ge_u64_e32 vcc_lo, v[8:9], v[6:7]
	v_mov_b64_e32 v[6:7], v[0:1]
	v_mov_b64_e32 v[8:9], v[18:19]
	s_and_b32 s27, vcc_lo, s19
	s_delay_alu instid0(SALU_CYCLE_1)
	s_and_saveexec_b32 s25, s27
	s_cbranch_execz .LBB22_35
; %bb.30:                               ;   in Loop: Header=BB22_13 Depth=1
	v_mov_b64_e32 v[8:9], v[4:5]
	v_mov_b64_e32 v[28:29], v[12:13]
	;; [unrolled: 1-line block ×4, first 2 shown]
	v_mov_b32_e32 v27, v26
	s_mov_b32 s26, 0
.LBB22_31:                              ;   Parent Loop BB22_13 Depth=1
                                        ; =>  This Inner Loop Header: Depth=2
	s_clause 0x1
	global_load_b32 v40, v[30:31], off offset:-1024
	global_load_b32 v41, v[30:31], off
	v_dual_lshlrev_b32 v39, 2, v6 :: v_dual_lshlrev_b32 v43, 2, v8
	v_add_nc_u64_e32 v[28:29], -2, v[28:29]
	v_add_nc_u64_e32 v[8:9], 0x200, v[8:9]
	ds_load_b32 v42, v39
	ds_load_b32 v43, v43
	v_add_nc_u64_e32 v[6:7], 0x200, v[6:7]
	v_cmp_eq_u64_e32 vcc_lo, 0, v[28:29]
	s_or_b32 s26, vcc_lo, s26
	s_wait_loadcnt_dscnt 0x0
	v_pk_fma_f32 v[40:41], v[26:27], v[42:43], v[40:41]
	s_clause 0x1
	global_store_b32 v[30:31], v40, off offset:-1024
	global_store_b32 v[30:31], v41, off
	s_wait_xcnt 0x0
	v_add_nc_u64_e32 v[30:31], 0x800, v[30:31]
	s_and_not1_b32 exec_lo, exec_lo, s26
	s_cbranch_execnz .LBB22_31
; %bb.32:                               ;   in Loop: Header=BB22_13 Depth=1
	s_or_b32 exec_lo, exec_lo, s26
	s_mov_b32 s26, 0
	s_and_saveexec_b32 s27, s5
; %bb.33:                               ;   in Loop: Header=BB22_13 Depth=1
	s_mov_b32 s26, exec_lo
; %bb.34:                               ;   in Loop: Header=BB22_13 Depth=1
	s_or_b32 exec_lo, exec_lo, s27
	v_mov_b64_e32 v[6:7], v[14:15]
	v_mov_b64_e32 v[8:9], v[24:25]
	s_or_not1_b32 s26, s26, exec_lo
.LBB22_35:                              ;   in Loop: Header=BB22_13 Depth=1
	s_or_b32 exec_lo, exec_lo, s25
	s_delay_alu instid0(SALU_CYCLE_1) | instskip(SKIP_1) | instid1(SALU_CYCLE_1)
	s_and_not1_b32 s25, s18, exec_lo
	s_and_b32 s26, s26, exec_lo
	s_or_b32 s25, s25, s26
.LBB22_36:                              ;   in Loop: Header=BB22_13 Depth=1
	s_or_b32 exec_lo, exec_lo, s24
	s_delay_alu instid0(SALU_CYCLE_1)
	s_and_b32 exec_lo, exec_lo, s25
	s_cbranch_execz .LBB22_12
; %bb.37:                               ;   in Loop: Header=BB22_13 Depth=1
	v_add_nc_u64_e32 v[8:9], s[12:13], v[8:9]
	v_lshlrev_b32_e32 v27, 2, v6
	s_mov_b32 s24, 0
.LBB22_38:                              ;   Parent Loop BB22_13 Depth=1
                                        ; =>  This Inner Loop Header: Depth=2
	global_load_b32 v28, v[8:9], off
	ds_load_b32 v29, v27
	v_add_nc_u64_e32 v[6:7], 0x100, v[6:7]
	v_add_nc_u32_e32 v27, 0x400, v27
	s_delay_alu instid0(VALU_DEP_2)
	v_cmp_le_i64_e32 vcc_lo, s[8:9], v[6:7]
	s_or_b32 s24, vcc_lo, s24
	s_wait_loadcnt_dscnt 0x0
	v_fmac_f32_e32 v28, v26, v29
	global_store_b32 v[8:9], v28, off
	s_wait_xcnt 0x0
	v_add_nc_u64_e32 v[8:9], 0x400, v[8:9]
	s_and_not1_b32 exec_lo, exec_lo, s24
	s_cbranch_execnz .LBB22_38
	s_branch .LBB22_12
.LBB22_39:
	s_endpgm
	.section	.rodata,"a",@progbits
	.p2align	6, 0x0
	.amdhsa_kernel _ZN9rocsolver6v33100L22larf_left_kernel_smallILi256EflPfEEvT1_S3_T2_lS3_lPKT0_lS4_lS3_l
		.amdhsa_group_segment_fixed_size 9216
		.amdhsa_private_segment_fixed_size 0
		.amdhsa_kernarg_size 96
		.amdhsa_user_sgpr_count 2
		.amdhsa_user_sgpr_dispatch_ptr 0
		.amdhsa_user_sgpr_queue_ptr 0
		.amdhsa_user_sgpr_kernarg_segment_ptr 1
		.amdhsa_user_sgpr_dispatch_id 0
		.amdhsa_user_sgpr_kernarg_preload_length 0
		.amdhsa_user_sgpr_kernarg_preload_offset 0
		.amdhsa_user_sgpr_private_segment_size 0
		.amdhsa_wavefront_size32 1
		.amdhsa_uses_dynamic_stack 0
		.amdhsa_enable_private_segment 0
		.amdhsa_system_sgpr_workgroup_id_x 1
		.amdhsa_system_sgpr_workgroup_id_y 1
		.amdhsa_system_sgpr_workgroup_id_z 0
		.amdhsa_system_sgpr_workgroup_info 0
		.amdhsa_system_vgpr_workitem_id 0
		.amdhsa_next_free_vgpr 44
		.amdhsa_next_free_sgpr 36
		.amdhsa_named_barrier_count 0
		.amdhsa_reserve_vcc 1
		.amdhsa_float_round_mode_32 0
		.amdhsa_float_round_mode_16_64 0
		.amdhsa_float_denorm_mode_32 3
		.amdhsa_float_denorm_mode_16_64 3
		.amdhsa_fp16_overflow 0
		.amdhsa_memory_ordered 1
		.amdhsa_forward_progress 1
		.amdhsa_inst_pref_size 16
		.amdhsa_round_robin_scheduling 0
		.amdhsa_exception_fp_ieee_invalid_op 0
		.amdhsa_exception_fp_denorm_src 0
		.amdhsa_exception_fp_ieee_div_zero 0
		.amdhsa_exception_fp_ieee_overflow 0
		.amdhsa_exception_fp_ieee_underflow 0
		.amdhsa_exception_fp_ieee_inexact 0
		.amdhsa_exception_int_div_zero 0
	.end_amdhsa_kernel
	.section	.text._ZN9rocsolver6v33100L22larf_left_kernel_smallILi256EflPfEEvT1_S3_T2_lS3_lPKT0_lS4_lS3_l,"axG",@progbits,_ZN9rocsolver6v33100L22larf_left_kernel_smallILi256EflPfEEvT1_S3_T2_lS3_lPKT0_lS4_lS3_l,comdat
.Lfunc_end22:
	.size	_ZN9rocsolver6v33100L22larf_left_kernel_smallILi256EflPfEEvT1_S3_T2_lS3_lPKT0_lS4_lS3_l, .Lfunc_end22-_ZN9rocsolver6v33100L22larf_left_kernel_smallILi256EflPfEEvT1_S3_T2_lS3_lPKT0_lS4_lS3_l
                                        ; -- End function
	.set _ZN9rocsolver6v33100L22larf_left_kernel_smallILi256EflPfEEvT1_S3_T2_lS3_lPKT0_lS4_lS3_l.num_vgpr, 44
	.set _ZN9rocsolver6v33100L22larf_left_kernel_smallILi256EflPfEEvT1_S3_T2_lS3_lPKT0_lS4_lS3_l.num_agpr, 0
	.set _ZN9rocsolver6v33100L22larf_left_kernel_smallILi256EflPfEEvT1_S3_T2_lS3_lPKT0_lS4_lS3_l.numbered_sgpr, 36
	.set _ZN9rocsolver6v33100L22larf_left_kernel_smallILi256EflPfEEvT1_S3_T2_lS3_lPKT0_lS4_lS3_l.num_named_barrier, 0
	.set _ZN9rocsolver6v33100L22larf_left_kernel_smallILi256EflPfEEvT1_S3_T2_lS3_lPKT0_lS4_lS3_l.private_seg_size, 0
	.set _ZN9rocsolver6v33100L22larf_left_kernel_smallILi256EflPfEEvT1_S3_T2_lS3_lPKT0_lS4_lS3_l.uses_vcc, 1
	.set _ZN9rocsolver6v33100L22larf_left_kernel_smallILi256EflPfEEvT1_S3_T2_lS3_lPKT0_lS4_lS3_l.uses_flat_scratch, 0
	.set _ZN9rocsolver6v33100L22larf_left_kernel_smallILi256EflPfEEvT1_S3_T2_lS3_lPKT0_lS4_lS3_l.has_dyn_sized_stack, 0
	.set _ZN9rocsolver6v33100L22larf_left_kernel_smallILi256EflPfEEvT1_S3_T2_lS3_lPKT0_lS4_lS3_l.has_recursion, 0
	.set _ZN9rocsolver6v33100L22larf_left_kernel_smallILi256EflPfEEvT1_S3_T2_lS3_lPKT0_lS4_lS3_l.has_indirect_call, 0
	.section	.AMDGPU.csdata,"",@progbits
; Kernel info:
; codeLenInByte = 1996
; TotalNumSgprs: 38
; NumVgprs: 44
; ScratchSize: 0
; MemoryBound: 0
; FloatMode: 240
; IeeeMode: 1
; LDSByteSize: 9216 bytes/workgroup (compile time only)
; SGPRBlocks: 0
; VGPRBlocks: 2
; NumSGPRsForWavesPerEU: 38
; NumVGPRsForWavesPerEU: 44
; NamedBarCnt: 0
; Occupancy: 16
; WaveLimiterHint : 1
; COMPUTE_PGM_RSRC2:SCRATCH_EN: 0
; COMPUTE_PGM_RSRC2:USER_SGPR: 2
; COMPUTE_PGM_RSRC2:TRAP_HANDLER: 0
; COMPUTE_PGM_RSRC2:TGID_X_EN: 1
; COMPUTE_PGM_RSRC2:TGID_Y_EN: 1
; COMPUTE_PGM_RSRC2:TGID_Z_EN: 0
; COMPUTE_PGM_RSRC2:TIDIG_COMP_CNT: 0
	.section	.text._ZN9rocsolver6v33100L22larf_left_kernel_smallILi512EflPfEEvT1_S3_T2_lS3_lPKT0_lS4_lS3_l,"axG",@progbits,_ZN9rocsolver6v33100L22larf_left_kernel_smallILi512EflPfEEvT1_S3_T2_lS3_lPKT0_lS4_lS3_l,comdat
	.globl	_ZN9rocsolver6v33100L22larf_left_kernel_smallILi512EflPfEEvT1_S3_T2_lS3_lPKT0_lS4_lS3_l ; -- Begin function _ZN9rocsolver6v33100L22larf_left_kernel_smallILi512EflPfEEvT1_S3_T2_lS3_lPKT0_lS4_lS3_l
	.p2align	8
	.type	_ZN9rocsolver6v33100L22larf_left_kernel_smallILi512EflPfEEvT1_S3_T2_lS3_lPKT0_lS4_lS3_l,@function
_ZN9rocsolver6v33100L22larf_left_kernel_smallILi512EflPfEEvT1_S3_T2_lS3_lPKT0_lS4_lS3_l: ; @_ZN9rocsolver6v33100L22larf_left_kernel_smallILi512EflPfEEvT1_S3_T2_lS3_lPKT0_lS4_lS3_l
; %bb.0:
	s_load_b512 s[8:23], s[0:1], 0x0
	s_mov_b64 s[24:25], 0
	s_wait_kmcnt 0x0
	v_cmp_gt_i64_e64 s2, s[16:17], 0
	s_and_b32 vcc_lo, exec_lo, s2
	s_cbranch_vccnz .LBB23_2
; %bb.1:
	s_sub_nc_u64 s[2:3], 1, s[8:9]
	s_delay_alu instid0(SALU_CYCLE_1)
	s_mul_u64 s[24:25], s[16:17], s[2:3]
.LBB23_2:
	s_bfe_u32 s2, ttmp6, 0x4000c
	v_mov_b32_e32 v1, 0
	s_add_co_i32 s2, s2, 1
	s_and_b32 s4, ttmp6, 15
	s_mul_i32 s2, ttmp9, s2
	s_getreg_b32 s3, hwreg(HW_REG_IB_STS2, 6, 4)
	s_add_co_i32 s4, s4, s2
	v_cmp_gt_i64_e64 s2, s[8:9], v[0:1]
	v_not_b32_e32 v2, v0
	s_cmp_eq_u32 s3, 0
	s_mov_b32 s7, 0
	s_cselect_b32 s4, ttmp9, s4
	s_mov_b32 s5, s7
	s_and_saveexec_b32 s6, s2
	s_cbranch_execz .LBB23_10
; %bb.3:
	v_mov_b32_e32 v3, -1
	v_mov_b64_e32 v[6:7], v[0:1]
	s_mul_u64 s[18:19], s[18:19], s[4:5]
	s_mov_b32 s26, -1
	s_mov_b32 s30, exec_lo
	v_add_nc_u64_e32 v[4:5], s[8:9], v[2:3]
	s_delay_alu instid0(VALU_DEP_1)
	v_cmpx_lt_u64_e32 0x1ff, v[4:5]
	s_cbranch_execz .LBB23_7
; %bb.4:
	v_lshrrev_b64 v[4:5], 9, v[4:5]
	s_lshl_b64 s[26:27], s[18:19], 2
	s_lshl_b64 s[28:29], s[14:15], 2
	s_add_nc_u64 s[26:27], s[12:13], s[26:27]
	v_or_b32_e32 v10, 0x200, v0
	s_lshl_b64 s[34:35], s[24:25], 2
	s_add_nc_u64 s[26:27], s[26:27], s[28:29]
	v_add_nc_u64_e32 v[4:5], 1, v[4:5]
	v_mov_b32_e32 v7, 0
	s_add_nc_u64 s[26:27], s[26:27], s[34:35]
	s_mov_b32 s28, s16
	s_mov_b32 s29, s17
	;; [unrolled: 1-line block ×3, first 2 shown]
	s_delay_alu instid0(VALU_DEP_2) | instskip(SKIP_1) | instid1(VALU_DEP_1)
	v_dual_mov_b32 v6, v0 :: v_dual_mov_b32 v9, v5
	v_dual_mov_b32 v11, v7 :: v_dual_bitop2_b32 v8, -2, v4 bitop3:0x40
	v_mov_b64_e32 v[12:13], v[8:9]
.LBB23_5:                               ; =>This Inner Loop Header: Depth=1
	s_delay_alu instid0(VALU_DEP_3) | instskip(NEXT) | instid1(VALU_DEP_3)
	v_mul_u64_e32 v[14:15], s[16:17], v[6:7]
	v_mul_u64_e32 v[16:17], s[28:29], v[10:11]
	s_delay_alu instid0(VALU_DEP_3) | instskip(NEXT) | instid1(VALU_DEP_1)
	v_add_nc_u64_e32 v[12:13], -2, v[12:13]
	v_cmp_eq_u64_e32 vcc_lo, 0, v[12:13]
	s_or_b32 s31, vcc_lo, s31
	s_delay_alu instid0(VALU_DEP_4) | instskip(NEXT) | instid1(VALU_DEP_4)
	v_lshl_add_u64 v[14:15], v[14:15], 2, s[26:27]
	v_lshl_add_u64 v[16:17], v[16:17], 2, s[26:27]
	s_clause 0x1
	global_load_b32 v3, v[14:15], off
	global_load_b32 v18, v[16:17], off
	s_wait_xcnt 0x1
	v_lshlrev_b32_e32 v14, 2, v6
	v_lshlrev_b32_e32 v15, 2, v10
	v_add_nc_u64_e32 v[10:11], 0x400, v[10:11]
	v_add_nc_u64_e32 v[6:7], 0x400, v[6:7]
	s_wait_loadcnt 0x1
	ds_store_b32 v14, v3
	s_wait_loadcnt 0x0
	ds_store_b32 v15, v18
	s_wait_xcnt 0x0
	s_and_not1_b32 exec_lo, exec_lo, s31
	s_cbranch_execnz .LBB23_5
; %bb.6:
	s_or_b32 exec_lo, exec_lo, s31
	v_lshlrev_b64_e32 v[6:7], 9, v[8:9]
	v_cmp_ne_u64_e32 vcc_lo, v[4:5], v[8:9]
	s_delay_alu instid0(VALU_DEP_2)
	v_or_b32_e32 v6, v6, v0
	s_or_not1_b32 s26, vcc_lo, exec_lo
.LBB23_7:
	s_or_b32 exec_lo, exec_lo, s30
	s_delay_alu instid0(SALU_CYCLE_1)
	s_and_b32 exec_lo, exec_lo, s26
	s_cbranch_execz .LBB23_10
; %bb.8:
	v_mul_u64_e32 v[4:5], s[16:17], v[6:7]
	s_lshl_b64 s[14:15], s[14:15], 2
	s_lshl_b64 s[24:25], s[24:25], 2
	s_add_nc_u64 s[12:13], s[12:13], s[14:15]
	s_lshl_b64 s[14:15], s[18:19], 2
	s_add_nc_u64 s[12:13], s[12:13], s[24:25]
	v_lshlrev_b32_e32 v3, 2, v6
	s_add_nc_u64 s[12:13], s[12:13], s[14:15]
	s_mov_b32 s14, 0
	s_delay_alu instid0(VALU_DEP_2)
	v_lshl_add_u64 v[4:5], v[4:5], 2, s[12:13]
	s_lshl_b64 s[12:13], s[16:17], 11
.LBB23_9:                               ; =>This Inner Loop Header: Depth=1
	global_load_b32 v8, v[4:5], off
	v_add_nc_u64_e32 v[6:7], 0x200, v[6:7]
	s_wait_xcnt 0x0
	v_add_nc_u64_e32 v[4:5], s[12:13], v[4:5]
	s_delay_alu instid0(VALU_DEP_2)
	v_cmp_le_i64_e32 vcc_lo, s[8:9], v[6:7]
	s_or_b32 s14, vcc_lo, s14
	s_wait_loadcnt 0x0
	ds_store_b32 v3, v8
	v_add_nc_u32_e32 v3, 0x800, v3
	s_and_not1_b32 exec_lo, exec_lo, s14
	s_cbranch_execnz .LBB23_9
.LBB23_10:
	s_or_b32 exec_lo, exec_lo, s6
	s_bfe_u32 s6, ttmp6, 0x40010
	s_bfe_u32 s12, ttmp6, 0x40004
	s_add_co_i32 s6, s6, 1
	s_wait_dscnt 0x0
	s_mul_i32 s6, ttmp7, s6
	s_barrier_signal -1
	s_add_co_i32 s12, s12, s6
	s_cmp_eq_u32 s3, 0
	s_barrier_wait -1
	s_cselect_b32 s6, ttmp7, s12
	s_delay_alu instid0(SALU_CYCLE_1)
	v_cmp_le_i64_e64 s3, s[10:11], s[6:7]
	s_and_b32 vcc_lo, exec_lo, s3
	s_cbranch_vccnz .LBB23_39
; %bb.11:
	v_mov_b32_e32 v3, -1
	s_load_b256 s[12:19], s[0:1], 0x40
	s_mul_u64 s[22:23], s[22:23], s[4:5]
	v_lshrrev_b32_e32 v32, 3, v0
	s_lshl_b64 s[22:23], s[22:23], 2
	v_add_nc_u64_e32 v[4:5], s[8:9], v[2:3]
	v_mov_b32_e32 v3, 0
	s_cmp_gt_i32 s8, 1
	s_add_nc_u64 s[20:21], s[20:21], s[22:23]
	s_cselect_b32 s22, -1, 0
	s_delay_alu instid0(VALU_DEP_1) | instskip(NEXT) | instid1(VALU_DEP_3)
	v_dual_mov_b32 v19, v3 :: v_dual_lshlrev_b32 v18, 2, v0
	v_lshrrev_b64 v[6:7], 9, v[4:5]
	v_and_b32_e32 v2, 31, v0
	v_lshlrev_b64_e32 v[10:11], 2, v[4:5]
	s_mov_b64 s[24:25], 0x3fffffffffffffff
	v_mbcnt_lo_u32_b32 v33, -1, 0
	v_cmp_lt_u64_e32 vcc_lo, s[24:25], v[4:5]
	v_cmp_eq_u32_e64 s3, 0, v2
	v_add_nc_u64_e32 v[6:7], 1, v[6:7]
	s_wait_xcnt 0x0
	v_cmp_gt_i32_e64 s0, s8, v0
	s_wait_kmcnt 0x0
	s_mul_u64 s[26:27], s[18:19], s[4:5]
	s_mul_u64 s[28:29], s[16:17], s[6:7]
	v_cmp_gt_u64_e64 s18, 0x600, v[4:5]
	s_add_nc_u64 s[4:5], s[26:27], s[28:29]
	s_lshl_b64 s[26:27], s[26:27], 2
	s_add_nc_u64 s[30:31], s[4:5], s[14:15]
	v_dual_mov_b32 v13, v7 :: v_dual_bitop2_b32 v12, -2, v6 bitop3:0x40
	v_add_nc_u64_e32 v[8:9], s[30:31], v[0:1]
	s_lshl_b64 s[28:29], s[28:29], 2
	s_lshl_b64 s[14:15], s[14:15], 2
	s_add_nc_u64 s[26:27], s[26:27], s[28:29]
	v_lshlrev_b64_e32 v[14:15], 9, v[12:13]
	s_add_nc_u64 s[14:15], s[26:27], s[14:15]
	v_cmp_lt_u64_e64 s4, 0x5ff, v[4:5]
	v_lshl_add_u64 v[16:17], v[8:9], 2, s[12:13]
	s_add_nc_u64 s[12:13], s[12:13], s[14:15]
	v_mov_b32_e32 v2, v0
	v_add_nc_u64_e32 v[20:21], s[12:13], v[18:19]
	v_or_b32_e32 v14, v14, v0
	v_cmp_ne_u64_e64 s5, v[6:7], v[12:13]
	v_cmp_eq_u32_e64 s1, 0, v0
	v_and_b32_e32 v10, 0xfffff800, v10
	v_or_b32_e32 v4, 0x200, v0
	v_lshlrev_b64_e32 v[24:25], 2, v[14:15]
	v_add_nc_u64_e32 v[22:23], 0x800, v[20:21]
	v_dual_mov_b32 v5, v3 :: v_dual_lshlrev_b32 v34, 2, v0
	v_lshl_or_b32 v35, v33, 2, 64
	v_mov_b32_e32 v36, 0x2004
	v_mov_b32_e32 v37, 0x200c
	;; [unrolled: 1-line block ×7, first 2 shown]
	s_lshl_b64 s[14:15], s[16:17], 8
	s_mov_b64 s[16:17], 0
	s_xor_b32 s19, vcc_lo, -1
	s_branch .LBB23_13
.LBB23_12:                              ;   in Loop: Header=BB23_13 Depth=1
	s_or_b32 exec_lo, exec_lo, s23
	s_add_nc_u64 s[6:7], s[6:7], 64
	v_add_nc_u64_e32 v[20:21], s[14:15], v[20:21]
	v_cmp_ge_i64_e64 s23, s[6:7], s[10:11]
	v_add_nc_u64_e32 v[22:23], s[14:15], v[22:23]
	s_add_nc_u64 s[16:17], s[16:17], 1
	s_add_nc_u64 s[12:13], s[12:13], s[14:15]
	s_and_b32 vcc_lo, exec_lo, s23
	s_cbranch_vccnz .LBB23_39
.LBB23_13:                              ; =>This Loop Header: Depth=1
                                        ;     Child Loop BB23_15 Depth 2
                                        ;     Child Loop BB23_31 Depth 2
	;; [unrolled: 1-line block ×3, first 2 shown]
	v_mov_b32_e32 v8, 0
	s_and_saveexec_b32 s23, s0
	s_cbranch_execz .LBB23_17
; %bb.14:                               ;   in Loop: Header=BB23_13 Depth=1
	v_mov_b64_e32 v[6:7], v[20:21]
	v_dual_mov_b32 v8, 0 :: v_dual_mov_b32 v9, v34
	v_mov_b32_e32 v26, v0
	s_mov_b32 s24, 0
.LBB23_15:                              ;   Parent Loop BB23_13 Depth=1
                                        ; =>  This Inner Loop Header: Depth=2
	global_load_b32 v27, v[6:7], off
	ds_load_b32 v28, v9
	v_add_nc_u32_e32 v26, 0x200, v26
	s_wait_xcnt 0x0
	v_add_nc_u64_e32 v[6:7], 0x800, v[6:7]
	v_add_nc_u32_e32 v9, 0x800, v9
	s_delay_alu instid0(VALU_DEP_3)
	v_cmp_le_i32_e32 vcc_lo, s8, v26
	s_or_b32 s24, vcc_lo, s24
	s_wait_loadcnt_dscnt 0x0
	v_fmac_f32_e32 v8, v28, v27
	s_and_not1_b32 exec_lo, exec_lo, s24
	s_cbranch_execnz .LBB23_15
; %bb.16:                               ;   in Loop: Header=BB23_13 Depth=1
	s_or_b32 exec_lo, exec_lo, s24
.LBB23_17:                              ;   in Loop: Header=BB23_13 Depth=1
	s_delay_alu instid0(SALU_CYCLE_1) | instskip(NEXT) | instid1(SALU_CYCLE_1)
	s_or_b32 exec_lo, exec_lo, s23
	s_and_b32 vcc_lo, exec_lo, s22
	s_cbranch_vccz .LBB23_24
; %bb.18:                               ;   in Loop: Header=BB23_13 Depth=1
	v_cmp_ne_u32_e32 vcc_lo, 31, v33
	v_add_co_ci_u32_e64 v6, null, 0, v33, vcc_lo
	v_cmp_gt_u32_e32 vcc_lo, 30, v33
	s_delay_alu instid0(VALU_DEP_2)
	v_lshlrev_b32_e32 v6, 2, v6
	v_cndmask_b32_e64 v7, 0, 2, vcc_lo
	v_cmp_gt_u32_e32 vcc_lo, 28, v33
	ds_bpermute_b32 v6, v6, v8
	v_add_lshl_u32 v7, v7, v33, 2
	v_cndmask_b32_e64 v9, 0, 4, vcc_lo
	v_cmp_gt_u32_e32 vcc_lo, 24, v33
	s_delay_alu instid0(VALU_DEP_2)
	v_add_lshl_u32 v9, v9, v33, 2
	s_wait_dscnt 0x0
	v_add_f32_e32 v6, v8, v6
	ds_bpermute_b32 v7, v7, v6
	s_wait_dscnt 0x0
	v_add_f32_e32 v6, v6, v7
	ds_bpermute_b32 v7, v9, v6
	v_cndmask_b32_e64 v9, 0, 8, vcc_lo
	s_wait_dscnt 0x0
	v_add_f32_e32 v6, v6, v7
	s_delay_alu instid0(VALU_DEP_2)
	v_add_lshl_u32 v7, v9, v33, 2
	ds_bpermute_b32 v7, v7, v6
	s_wait_dscnt 0x0
	v_add_f32_e32 v6, v6, v7
	ds_bpermute_b32 v7, v35, v6
	s_wait_dscnt 0x0
	v_add_f32_e32 v6, v6, v7
	s_and_saveexec_b32 s23, s3
; %bb.19:                               ;   in Loop: Header=BB23_13 Depth=1
	ds_store_b32 v32, v6 offset:8192
; %bb.20:                               ;   in Loop: Header=BB23_13 Depth=1
	s_or_b32 exec_lo, exec_lo, s23
	s_mov_b32 s24, 0
	s_mov_b32 s23, 0
	s_wait_dscnt 0x0
	s_barrier_signal -1
	s_barrier_wait -1
                                        ; implicit-def: $vgpr7
	s_and_saveexec_b32 s25, s1
	s_delay_alu instid0(SALU_CYCLE_1)
	s_xor_b32 s25, exec_lo, s25
	s_cbranch_execz .LBB23_22
; %bb.21:                               ;   in Loop: Header=BB23_13 Depth=1
	ds_load_2addr_b32 v[26:27], v36 offset1:1
	ds_load_2addr_b32 v[28:29], v37 offset1:1
	;; [unrolled: 1-line block ×4, first 2 shown]
	s_mov_b32 s23, exec_lo
	s_wait_dscnt 0x3
	v_add_f32_e32 v6, v6, v26
	s_delay_alu instid0(VALU_DEP_1) | instskip(SKIP_3) | instid1(VALU_DEP_1)
	v_add_f32_e32 v6, v6, v27
	ds_load_2addr_b32 v[26:27], v41 offset1:1
	s_wait_dscnt 0x3
	v_add_f32_e32 v6, v6, v28
	v_add_f32_e32 v6, v6, v29
	s_wait_dscnt 0x2
	s_delay_alu instid0(VALU_DEP_1)
	v_add_f32_e32 v9, v6, v30
	ds_load_2addr_b32 v[6:7], v40 offset1:1
	ds_load_2addr_b32 v[28:29], v42 offset1:1
	ds_load_b32 v30, v3 offset:8252
	v_add_f32_e32 v9, v9, v31
	s_wait_dscnt 0x4
	s_delay_alu instid0(VALU_DEP_1) | instskip(NEXT) | instid1(VALU_DEP_1)
	v_add_f32_e32 v9, v9, v44
	v_add_f32_e32 v9, v9, v45
	s_wait_dscnt 0x2
	s_delay_alu instid0(VALU_DEP_1) | instskip(NEXT) | instid1(VALU_DEP_1)
	v_add_f32_e32 v6, v9, v6
	v_add_f32_e32 v6, v6, v7
	s_delay_alu instid0(VALU_DEP_1) | instskip(NEXT) | instid1(VALU_DEP_1)
	v_add_f32_e32 v6, v6, v26
	v_add_f32_e32 v6, v6, v27
	s_wait_dscnt 0x1
	s_delay_alu instid0(VALU_DEP_1) | instskip(NEXT) | instid1(VALU_DEP_1)
	v_add_f32_e32 v6, v6, v28
	v_add_f32_e32 v6, v6, v29
	s_wait_dscnt 0x0
	s_delay_alu instid0(VALU_DEP_1)
	v_add_f32_e32 v7, v6, v30
.LBB23_22:                              ;   in Loop: Header=BB23_13 Depth=1
	s_or_b32 exec_lo, exec_lo, s25
	s_delay_alu instid0(SALU_CYCLE_1)
	s_and_b32 vcc_lo, exec_lo, s24
	s_cbranch_vccnz .LBB23_25
.LBB23_23:                              ;   in Loop: Header=BB23_13 Depth=1
	s_delay_alu instid0(VALU_DEP_1)
	v_mov_b32_e32 v8, v7
	s_and_saveexec_b32 s24, s23
	s_cbranch_execnz .LBB23_26
	s_branch .LBB23_27
.LBB23_24:                              ;   in Loop: Header=BB23_13 Depth=1
	s_mov_b32 s23, 0
                                        ; implicit-def: $vgpr7
	s_cbranch_execz .LBB23_23
.LBB23_25:                              ;   in Loop: Header=BB23_13 Depth=1
	s_and_not1_b32 s23, s23, exec_lo
	s_and_b32 s24, s1, exec_lo
	s_delay_alu instid0(SALU_CYCLE_1) | instskip(NEXT) | instid1(SALU_CYCLE_1)
	s_or_b32 s23, s23, s24
	s_and_saveexec_b32 s24, s23
.LBB23_26:                              ;   in Loop: Header=BB23_13 Depth=1
	ds_store_b32 v3, v8 offset:8192
.LBB23_27:                              ;   in Loop: Header=BB23_13 Depth=1
	s_or_b32 exec_lo, exec_lo, s24
	s_wait_dscnt 0x0
	s_barrier_signal -1
	s_barrier_wait -1
	s_and_saveexec_b32 s23, s2
	s_cbranch_execz .LBB23_12
; %bb.28:                               ;   in Loop: Header=BB23_13 Depth=1
	global_load_b32 v6, v3, s[20:21]
	ds_load_b32 v8, v3 offset:8192
	s_mov_b32 s25, s18
	s_wait_loadcnt 0x0
	v_xor_b32_e32 v9, 0x80000000, v6
	v_mov_b64_e32 v[6:7], v[0:1]
	s_wait_dscnt 0x0
	s_delay_alu instid0(VALU_DEP_2)
	v_mul_f32_e32 v26, v8, v9
	v_mov_b64_e32 v[8:9], v[18:19]
	s_wait_xcnt 0x0
	s_and_saveexec_b32 s24, s4
	s_cbranch_execz .LBB23_36
; %bb.29:                               ;   in Loop: Header=BB23_13 Depth=1
	v_mad_nc_u64_u32 v[6:7], s14, s16, v[16:17]
	s_mul_i32 s25, s15, s16
	s_mul_i32 s26, s14, s17
	s_delay_alu instid0(VALU_DEP_1) | instid1(SALU_CYCLE_1)
	v_add3_u32 v7, s26, s25, v7
	s_mov_b32 s26, -1
	s_delay_alu instid0(VALU_DEP_1) | instskip(NEXT) | instid1(VALU_DEP_1)
	v_add_nc_u64_e32 v[8:9], v[6:7], v[10:11]
	v_cmp_ge_u64_e32 vcc_lo, v[8:9], v[6:7]
	v_mov_b64_e32 v[6:7], v[0:1]
	v_mov_b64_e32 v[8:9], v[18:19]
	s_and_b32 s27, vcc_lo, s19
	s_delay_alu instid0(SALU_CYCLE_1)
	s_and_saveexec_b32 s25, s27
	s_cbranch_execz .LBB23_35
; %bb.30:                               ;   in Loop: Header=BB23_13 Depth=1
	v_mov_b64_e32 v[8:9], v[4:5]
	v_mov_b64_e32 v[28:29], v[12:13]
	;; [unrolled: 1-line block ×4, first 2 shown]
	v_mov_b32_e32 v27, v26
	s_mov_b32 s26, 0
.LBB23_31:                              ;   Parent Loop BB23_13 Depth=1
                                        ; =>  This Inner Loop Header: Depth=2
	s_clause 0x1
	global_load_b32 v44, v[30:31], off offset:-2048
	global_load_b32 v45, v[30:31], off
	v_dual_lshlrev_b32 v43, 2, v6 :: v_dual_lshlrev_b32 v47, 2, v8
	v_add_nc_u64_e32 v[28:29], -2, v[28:29]
	v_add_nc_u64_e32 v[8:9], 0x400, v[8:9]
	ds_load_b32 v46, v43
	ds_load_b32 v47, v47
	v_add_nc_u64_e32 v[6:7], 0x400, v[6:7]
	v_cmp_eq_u64_e32 vcc_lo, 0, v[28:29]
	s_or_b32 s26, vcc_lo, s26
	s_wait_loadcnt_dscnt 0x0
	v_pk_fma_f32 v[44:45], v[26:27], v[46:47], v[44:45]
	s_clause 0x1
	global_store_b32 v[30:31], v44, off offset:-2048
	global_store_b32 v[30:31], v45, off
	s_wait_xcnt 0x0
	v_add_nc_u64_e32 v[30:31], 0x1000, v[30:31]
	s_and_not1_b32 exec_lo, exec_lo, s26
	s_cbranch_execnz .LBB23_31
; %bb.32:                               ;   in Loop: Header=BB23_13 Depth=1
	s_or_b32 exec_lo, exec_lo, s26
	s_mov_b32 s26, 0
	s_and_saveexec_b32 s27, s5
; %bb.33:                               ;   in Loop: Header=BB23_13 Depth=1
	s_mov_b32 s26, exec_lo
; %bb.34:                               ;   in Loop: Header=BB23_13 Depth=1
	s_or_b32 exec_lo, exec_lo, s27
	v_mov_b64_e32 v[6:7], v[14:15]
	v_mov_b64_e32 v[8:9], v[24:25]
	s_or_not1_b32 s26, s26, exec_lo
.LBB23_35:                              ;   in Loop: Header=BB23_13 Depth=1
	s_or_b32 exec_lo, exec_lo, s25
	s_delay_alu instid0(SALU_CYCLE_1) | instskip(SKIP_1) | instid1(SALU_CYCLE_1)
	s_and_not1_b32 s25, s18, exec_lo
	s_and_b32 s26, s26, exec_lo
	s_or_b32 s25, s25, s26
.LBB23_36:                              ;   in Loop: Header=BB23_13 Depth=1
	s_or_b32 exec_lo, exec_lo, s24
	s_delay_alu instid0(SALU_CYCLE_1)
	s_and_b32 exec_lo, exec_lo, s25
	s_cbranch_execz .LBB23_12
; %bb.37:                               ;   in Loop: Header=BB23_13 Depth=1
	v_add_nc_u64_e32 v[8:9], s[12:13], v[8:9]
	v_lshlrev_b32_e32 v27, 2, v6
	s_mov_b32 s24, 0
.LBB23_38:                              ;   Parent Loop BB23_13 Depth=1
                                        ; =>  This Inner Loop Header: Depth=2
	global_load_b32 v28, v[8:9], off
	ds_load_b32 v29, v27
	v_add_nc_u64_e32 v[6:7], 0x200, v[6:7]
	v_add_nc_u32_e32 v27, 0x800, v27
	s_delay_alu instid0(VALU_DEP_2)
	v_cmp_le_i64_e32 vcc_lo, s[8:9], v[6:7]
	s_or_b32 s24, vcc_lo, s24
	s_wait_loadcnt_dscnt 0x0
	v_fmac_f32_e32 v28, v26, v29
	global_store_b32 v[8:9], v28, off
	s_wait_xcnt 0x0
	v_add_nc_u64_e32 v[8:9], 0x800, v[8:9]
	s_and_not1_b32 exec_lo, exec_lo, s24
	s_cbranch_execnz .LBB23_38
	s_branch .LBB23_12
.LBB23_39:
	s_endpgm
	.section	.rodata,"a",@progbits
	.p2align	6, 0x0
	.amdhsa_kernel _ZN9rocsolver6v33100L22larf_left_kernel_smallILi512EflPfEEvT1_S3_T2_lS3_lPKT0_lS4_lS3_l
		.amdhsa_group_segment_fixed_size 10240
		.amdhsa_private_segment_fixed_size 0
		.amdhsa_kernarg_size 96
		.amdhsa_user_sgpr_count 2
		.amdhsa_user_sgpr_dispatch_ptr 0
		.amdhsa_user_sgpr_queue_ptr 0
		.amdhsa_user_sgpr_kernarg_segment_ptr 1
		.amdhsa_user_sgpr_dispatch_id 0
		.amdhsa_user_sgpr_kernarg_preload_length 0
		.amdhsa_user_sgpr_kernarg_preload_offset 0
		.amdhsa_user_sgpr_private_segment_size 0
		.amdhsa_wavefront_size32 1
		.amdhsa_uses_dynamic_stack 0
		.amdhsa_enable_private_segment 0
		.amdhsa_system_sgpr_workgroup_id_x 1
		.amdhsa_system_sgpr_workgroup_id_y 1
		.amdhsa_system_sgpr_workgroup_id_z 0
		.amdhsa_system_sgpr_workgroup_info 0
		.amdhsa_system_vgpr_workitem_id 0
		.amdhsa_next_free_vgpr 48
		.amdhsa_next_free_sgpr 36
		.amdhsa_named_barrier_count 0
		.amdhsa_reserve_vcc 1
		.amdhsa_float_round_mode_32 0
		.amdhsa_float_round_mode_16_64 0
		.amdhsa_float_denorm_mode_32 3
		.amdhsa_float_denorm_mode_16_64 3
		.amdhsa_fp16_overflow 0
		.amdhsa_memory_ordered 1
		.amdhsa_forward_progress 1
		.amdhsa_inst_pref_size 17
		.amdhsa_round_robin_scheduling 0
		.amdhsa_exception_fp_ieee_invalid_op 0
		.amdhsa_exception_fp_denorm_src 0
		.amdhsa_exception_fp_ieee_div_zero 0
		.amdhsa_exception_fp_ieee_overflow 0
		.amdhsa_exception_fp_ieee_underflow 0
		.amdhsa_exception_fp_ieee_inexact 0
		.amdhsa_exception_int_div_zero 0
	.end_amdhsa_kernel
	.section	.text._ZN9rocsolver6v33100L22larf_left_kernel_smallILi512EflPfEEvT1_S3_T2_lS3_lPKT0_lS4_lS3_l,"axG",@progbits,_ZN9rocsolver6v33100L22larf_left_kernel_smallILi512EflPfEEvT1_S3_T2_lS3_lPKT0_lS4_lS3_l,comdat
.Lfunc_end23:
	.size	_ZN9rocsolver6v33100L22larf_left_kernel_smallILi512EflPfEEvT1_S3_T2_lS3_lPKT0_lS4_lS3_l, .Lfunc_end23-_ZN9rocsolver6v33100L22larf_left_kernel_smallILi512EflPfEEvT1_S3_T2_lS3_lPKT0_lS4_lS3_l
                                        ; -- End function
	.set _ZN9rocsolver6v33100L22larf_left_kernel_smallILi512EflPfEEvT1_S3_T2_lS3_lPKT0_lS4_lS3_l.num_vgpr, 48
	.set _ZN9rocsolver6v33100L22larf_left_kernel_smallILi512EflPfEEvT1_S3_T2_lS3_lPKT0_lS4_lS3_l.num_agpr, 0
	.set _ZN9rocsolver6v33100L22larf_left_kernel_smallILi512EflPfEEvT1_S3_T2_lS3_lPKT0_lS4_lS3_l.numbered_sgpr, 36
	.set _ZN9rocsolver6v33100L22larf_left_kernel_smallILi512EflPfEEvT1_S3_T2_lS3_lPKT0_lS4_lS3_l.num_named_barrier, 0
	.set _ZN9rocsolver6v33100L22larf_left_kernel_smallILi512EflPfEEvT1_S3_T2_lS3_lPKT0_lS4_lS3_l.private_seg_size, 0
	.set _ZN9rocsolver6v33100L22larf_left_kernel_smallILi512EflPfEEvT1_S3_T2_lS3_lPKT0_lS4_lS3_l.uses_vcc, 1
	.set _ZN9rocsolver6v33100L22larf_left_kernel_smallILi512EflPfEEvT1_S3_T2_lS3_lPKT0_lS4_lS3_l.uses_flat_scratch, 0
	.set _ZN9rocsolver6v33100L22larf_left_kernel_smallILi512EflPfEEvT1_S3_T2_lS3_lPKT0_lS4_lS3_l.has_dyn_sized_stack, 0
	.set _ZN9rocsolver6v33100L22larf_left_kernel_smallILi512EflPfEEvT1_S3_T2_lS3_lPKT0_lS4_lS3_l.has_recursion, 0
	.set _ZN9rocsolver6v33100L22larf_left_kernel_smallILi512EflPfEEvT1_S3_T2_lS3_lPKT0_lS4_lS3_l.has_indirect_call, 0
	.section	.AMDGPU.csdata,"",@progbits
; Kernel info:
; codeLenInByte = 2120
; TotalNumSgprs: 38
; NumVgprs: 48
; ScratchSize: 0
; MemoryBound: 0
; FloatMode: 240
; IeeeMode: 1
; LDSByteSize: 10240 bytes/workgroup (compile time only)
; SGPRBlocks: 0
; VGPRBlocks: 2
; NumSGPRsForWavesPerEU: 38
; NumVGPRsForWavesPerEU: 48
; NamedBarCnt: 0
; Occupancy: 16
; WaveLimiterHint : 1
; COMPUTE_PGM_RSRC2:SCRATCH_EN: 0
; COMPUTE_PGM_RSRC2:USER_SGPR: 2
; COMPUTE_PGM_RSRC2:TRAP_HANDLER: 0
; COMPUTE_PGM_RSRC2:TGID_X_EN: 1
; COMPUTE_PGM_RSRC2:TGID_Y_EN: 1
; COMPUTE_PGM_RSRC2:TGID_Z_EN: 0
; COMPUTE_PGM_RSRC2:TIDIG_COMP_CNT: 0
	.section	.text._ZN9rocsolver6v33100L22larf_left_kernel_smallILi1024EflPfEEvT1_S3_T2_lS3_lPKT0_lS4_lS3_l,"axG",@progbits,_ZN9rocsolver6v33100L22larf_left_kernel_smallILi1024EflPfEEvT1_S3_T2_lS3_lPKT0_lS4_lS3_l,comdat
	.globl	_ZN9rocsolver6v33100L22larf_left_kernel_smallILi1024EflPfEEvT1_S3_T2_lS3_lPKT0_lS4_lS3_l ; -- Begin function _ZN9rocsolver6v33100L22larf_left_kernel_smallILi1024EflPfEEvT1_S3_T2_lS3_lPKT0_lS4_lS3_l
	.p2align	8
	.type	_ZN9rocsolver6v33100L22larf_left_kernel_smallILi1024EflPfEEvT1_S3_T2_lS3_lPKT0_lS4_lS3_l,@function
_ZN9rocsolver6v33100L22larf_left_kernel_smallILi1024EflPfEEvT1_S3_T2_lS3_lPKT0_lS4_lS3_l: ; @_ZN9rocsolver6v33100L22larf_left_kernel_smallILi1024EflPfEEvT1_S3_T2_lS3_lPKT0_lS4_lS3_l
; %bb.0:
	s_load_b512 s[8:23], s[0:1], 0x0
	s_mov_b64 s[4:5], 0
	s_wait_kmcnt 0x0
	v_cmp_gt_i64_e64 s2, s[16:17], 0
	s_and_b32 vcc_lo, exec_lo, s2
	s_cbranch_vccnz .LBB24_2
; %bb.1:
	s_sub_nc_u64 s[2:3], 1, s[8:9]
	s_delay_alu instid0(SALU_CYCLE_1)
	s_mul_u64 s[4:5], s[16:17], s[2:3]
.LBB24_2:
	s_bfe_u32 s2, ttmp6, 0x4000c
	v_mov_b32_e32 v1, 0
	s_add_co_i32 s2, s2, 1
	s_and_b32 s6, ttmp6, 15
	s_mul_i32 s2, ttmp9, s2
	s_getreg_b32 s3, hwreg(HW_REG_IB_STS2, 6, 4)
	s_add_co_i32 s6, s6, s2
	v_cmp_gt_i64_e64 s2, s[8:9], v[0:1]
	v_not_b32_e32 v6, v0
	s_cmp_eq_u32 s3, 0
	s_mov_b32 s7, 0
	s_cselect_b32 s24, ttmp9, s6
	s_mov_b32 s25, s7
	s_and_saveexec_b32 s6, s2
	s_cbranch_execz .LBB24_10
; %bb.3:
	v_mov_b32_e32 v7, -1
	v_mov_b64_e32 v[2:3], v[0:1]
	s_mul_u64 s[18:19], s[18:19], s[24:25]
	s_mov_b32 s26, -1
	s_mov_b32 s30, exec_lo
	v_add_nc_u64_e32 v[4:5], s[8:9], v[6:7]
	s_delay_alu instid0(VALU_DEP_1)
	v_cmpx_lt_u64_e32 0x3ff, v[4:5]
	s_cbranch_execz .LBB24_7
; %bb.4:
	v_lshrrev_b64 v[2:3], 10, v[4:5]
	s_lshl_b64 s[26:27], s[18:19], 2
	s_lshl_b64 s[28:29], s[14:15], 2
	s_add_nc_u64 s[26:27], s[12:13], s[26:27]
	s_lshl_b64 s[34:35], s[4:5], 2
	s_add_nc_u64 s[26:27], s[26:27], s[28:29]
	s_mov_b32 s28, s16
	v_add_nc_u64_e32 v[8:9], 1, v[2:3]
	v_or_b32_e32 v2, 0x400, v0
	v_mov_b32_e32 v3, v1
	s_add_nc_u64 s[26:27], s[26:27], s[34:35]
	s_mov_b32 s29, s17
	s_mov_b32 s31, 0
	s_delay_alu instid0(VALU_DEP_1) | instskip(SKIP_2) | instid1(VALU_DEP_2)
	v_mov_b64_e32 v[4:5], v[2:3]
	v_dual_mov_b32 v11, v9 :: v_dual_bitop2_b32 v10, -2, v8 bitop3:0x40
	v_mov_b64_e32 v[2:3], v[0:1]
	v_mov_b64_e32 v[12:13], v[10:11]
.LBB24_5:                               ; =>This Inner Loop Header: Depth=1
	s_delay_alu instid0(VALU_DEP_2) | instskip(SKIP_1) | instid1(VALU_DEP_3)
	v_mul_u64_e32 v[14:15], s[16:17], v[2:3]
	v_mul_u64_e32 v[16:17], s[28:29], v[4:5]
	v_add_nc_u64_e32 v[12:13], -2, v[12:13]
	s_delay_alu instid0(VALU_DEP_1) | instskip(SKIP_1) | instid1(VALU_DEP_4)
	v_cmp_eq_u64_e32 vcc_lo, 0, v[12:13]
	s_or_b32 s31, vcc_lo, s31
	v_lshl_add_u64 v[14:15], v[14:15], 2, s[26:27]
	s_delay_alu instid0(VALU_DEP_4)
	v_lshl_add_u64 v[16:17], v[16:17], 2, s[26:27]
	s_clause 0x1
	global_load_b32 v7, v[14:15], off
	global_load_b32 v18, v[16:17], off
	s_wait_xcnt 0x1
	v_dual_lshlrev_b32 v14, 2, v2 :: v_dual_lshlrev_b32 v15, 2, v4
	v_add_nc_u64_e32 v[4:5], 0x800, v[4:5]
	v_add_nc_u64_e32 v[2:3], 0x800, v[2:3]
	s_wait_loadcnt 0x1
	ds_store_b32 v14, v7
	s_wait_loadcnt 0x0
	ds_store_b32 v15, v18
	s_wait_xcnt 0x0
	s_and_not1_b32 exec_lo, exec_lo, s31
	s_cbranch_execnz .LBB24_5
; %bb.6:
	s_or_b32 exec_lo, exec_lo, s31
	v_lshlrev_b64_e32 v[2:3], 10, v[10:11]
	v_cmp_ne_u64_e32 vcc_lo, v[8:9], v[10:11]
	s_delay_alu instid0(VALU_DEP_2)
	v_or_b32_e32 v2, v2, v0
	s_or_not1_b32 s26, vcc_lo, exec_lo
.LBB24_7:
	s_or_b32 exec_lo, exec_lo, s30
	s_delay_alu instid0(SALU_CYCLE_1)
	s_and_b32 exec_lo, exec_lo, s26
	s_cbranch_execz .LBB24_10
; %bb.8:
	v_mul_u64_e32 v[4:5], s[16:17], v[2:3]
	s_lshl_b64 s[14:15], s[14:15], 2
	s_lshl_b64 s[4:5], s[4:5], 2
	s_add_nc_u64 s[12:13], s[12:13], s[14:15]
	s_lshl_b64 s[14:15], s[18:19], 2
	s_add_nc_u64 s[4:5], s[12:13], s[4:5]
	v_lshlrev_b32_e32 v7, 2, v2
	s_add_nc_u64 s[4:5], s[4:5], s[14:15]
	s_mov_b32 s12, 0
	s_delay_alu instid0(VALU_DEP_2)
	v_lshl_add_u64 v[4:5], v[4:5], 2, s[4:5]
	s_lshl_b64 s[4:5], s[16:17], 12
.LBB24_9:                               ; =>This Inner Loop Header: Depth=1
	global_load_b32 v8, v[4:5], off
	v_add_nc_u64_e32 v[2:3], 0x400, v[2:3]
	s_wait_xcnt 0x0
	v_add_nc_u64_e32 v[4:5], s[4:5], v[4:5]
	s_delay_alu instid0(VALU_DEP_2)
	v_cmp_le_i64_e32 vcc_lo, s[8:9], v[2:3]
	s_or_b32 s12, vcc_lo, s12
	s_wait_loadcnt 0x0
	ds_store_b32 v7, v8
	v_add_nc_u32_e32 v7, 0x1000, v7
	s_and_not1_b32 exec_lo, exec_lo, s12
	s_cbranch_execnz .LBB24_9
.LBB24_10:
	s_or_b32 exec_lo, exec_lo, s6
	s_bfe_u32 s4, ttmp6, 0x40010
	s_bfe_u32 s5, ttmp6, 0x40004
	s_add_co_i32 s4, s4, 1
	s_wait_dscnt 0x0
	s_mul_i32 s4, ttmp7, s4
	s_barrier_signal -1
	s_add_co_i32 s5, s5, s4
	s_cmp_eq_u32 s3, 0
	s_barrier_wait -1
	s_cselect_b32 s6, ttmp7, s5
	s_delay_alu instid0(SALU_CYCLE_1)
	v_cmp_le_i64_e64 s3, s[10:11], s[6:7]
	s_and_b32 vcc_lo, exec_lo, s3
	s_cbranch_vccnz .LBB24_39
; %bb.11:
	v_mov_b32_e32 v7, -1
	s_load_b256 s[12:19], s[0:1], 0x40
	s_mul_u64 s[4:5], s[22:23], s[24:25]
	v_dual_lshrrev_b32 v30, 3, v0 :: v_dual_lshlrev_b32 v8, 2, v0
	s_delay_alu instid0(VALU_DEP_2)
	v_add_nc_u64_e32 v[2:3], s[8:9], v[6:7]
	v_and_b32_e32 v6, 31, v0
	s_lshl_b64 s[4:5], s[4:5], 2
	s_cmp_gt_i32 s8, 1
	v_mbcnt_lo_u32_b32 v31, -1, 0
	s_cselect_b32 s22, -1, 0
	v_cmp_eq_u32_e64 s3, 0, v6
	v_lshrrev_b64 v[4:5], 10, v[2:3]
	v_lshlrev_b64_e32 v[10:11], 2, v[2:3]
	s_add_nc_u64 s[20:21], s[20:21], s[4:5]
	v_cmp_gt_u64_e64 s23, 0xc00, v[2:3]
	v_cmp_lt_u64_e64 s4, 0xbff, v[2:3]
	s_wait_xcnt 0x0
	v_cmp_gt_i32_e64 s0, s8, v0
	v_cmp_eq_u32_e64 s1, 0, v0
	v_add_nc_u64_e32 v[4:5], 1, v[4:5]
	v_and_b32_e32 v10, 0xfffff000, v10
	s_wait_kmcnt 0x0
	s_mul_u64 s[18:19], s[18:19], s[24:25]
	s_mul_u64 s[24:25], s[16:17], s[6:7]
	v_lshl_or_b32 v33, v31, 2, 64
	s_add_nc_u64 s[26:27], s[18:19], s[24:25]
	s_lshl_b64 s[18:19], s[18:19], 2
	v_dual_mov_b32 v13, v5 :: v_dual_bitop2_b32 v12, -2, v4 bitop3:0x40
	s_add_nc_u64 s[26:27], s[26:27], s[14:15]
	s_lshl_b64 s[24:25], s[24:25], 2
	v_add_nc_u64_e32 v[6:7], s[26:27], v[0:1]
	s_lshl_b64 s[14:15], s[14:15], 2
	v_lshlrev_b64_e32 v[14:15], 10, v[12:13]
	s_add_nc_u64 s[18:19], s[18:19], s[24:25]
	v_mov_b32_e32 v9, 0
	s_add_nc_u64 s[14:15], s[18:19], s[14:15]
	s_mov_b64 s[18:19], 0x3fffffffffffffff
	v_lshl_add_u64 v[16:17], v[6:7], 2, s[12:13]
	s_add_nc_u64 s[12:13], s[12:13], s[14:15]
	v_or_b32_e32 v14, v14, v0
	v_add_nc_u64_e32 v[18:19], s[12:13], v[8:9]
	v_cmp_lt_u64_e32 vcc_lo, s[18:19], v[2:3]
	v_cmp_ne_u64_e64 s5, v[4:5], v[12:13]
	v_or_b32_e32 v2, 0x400, v0
	v_lshlrev_b64_e32 v[22:23], 2, v[14:15]
	v_dual_mov_b32 v3, v1 :: v_dual_lshlrev_b32 v32, 2, v0
	v_add_nc_u64_e32 v[20:21], 0x1000, v[18:19]
	v_mov_b32_e32 v34, 0x2004
	v_mov_b32_e32 v35, 0x200c
	;; [unrolled: 1-line block ×15, first 2 shown]
	s_lshl_b64 s[14:15], s[16:17], 8
	s_mov_b64 s[16:17], 0
	s_xor_b32 s18, vcc_lo, -1
	s_branch .LBB24_13
.LBB24_12:                              ;   in Loop: Header=BB24_13 Depth=1
	s_or_b32 exec_lo, exec_lo, s19
	s_add_nc_u64 s[6:7], s[6:7], 64
	v_add_nc_u64_e32 v[18:19], s[14:15], v[18:19]
	v_cmp_ge_i64_e64 s19, s[6:7], s[10:11]
	v_add_nc_u64_e32 v[20:21], s[14:15], v[20:21]
	s_add_nc_u64 s[16:17], s[16:17], 1
	s_add_nc_u64 s[12:13], s[12:13], s[14:15]
	s_and_b32 vcc_lo, exec_lo, s19
	s_cbranch_vccnz .LBB24_39
.LBB24_13:                              ; =>This Loop Header: Depth=1
                                        ;     Child Loop BB24_15 Depth 2
                                        ;     Child Loop BB24_31 Depth 2
	;; [unrolled: 1-line block ×3, first 2 shown]
	v_mov_b32_e32 v6, 0
	s_and_saveexec_b32 s19, s0
	s_cbranch_execz .LBB24_17
; %bb.14:                               ;   in Loop: Header=BB24_13 Depth=1
	v_mov_b64_e32 v[4:5], v[18:19]
	v_dual_mov_b32 v6, 0 :: v_dual_mov_b32 v7, v32
	v_mov_b32_e32 v24, v0
	s_mov_b32 s24, 0
.LBB24_15:                              ;   Parent Loop BB24_13 Depth=1
                                        ; =>  This Inner Loop Header: Depth=2
	global_load_b32 v25, v[4:5], off
	ds_load_b32 v26, v7
	v_add_nc_u32_e32 v24, 0x400, v24
	s_wait_xcnt 0x0
	v_add_nc_u64_e32 v[4:5], 0x1000, v[4:5]
	v_add_nc_u32_e32 v7, 0x1000, v7
	s_delay_alu instid0(VALU_DEP_3)
	v_cmp_le_i32_e32 vcc_lo, s8, v24
	s_or_b32 s24, vcc_lo, s24
	s_wait_loadcnt_dscnt 0x0
	v_fmac_f32_e32 v6, v26, v25
	s_and_not1_b32 exec_lo, exec_lo, s24
	s_cbranch_execnz .LBB24_15
; %bb.16:                               ;   in Loop: Header=BB24_13 Depth=1
	s_or_b32 exec_lo, exec_lo, s24
.LBB24_17:                              ;   in Loop: Header=BB24_13 Depth=1
	s_delay_alu instid0(SALU_CYCLE_1) | instskip(NEXT) | instid1(SALU_CYCLE_1)
	s_or_b32 exec_lo, exec_lo, s19
	s_and_b32 vcc_lo, exec_lo, s22
	s_cbranch_vccz .LBB24_24
; %bb.18:                               ;   in Loop: Header=BB24_13 Depth=1
	v_cmp_ne_u32_e32 vcc_lo, 31, v31
	v_add_co_ci_u32_e64 v4, null, 0, v31, vcc_lo
	v_cmp_gt_u32_e32 vcc_lo, 30, v31
	s_delay_alu instid0(VALU_DEP_2)
	v_lshlrev_b32_e32 v4, 2, v4
	v_cndmask_b32_e64 v5, 0, 2, vcc_lo
	v_cmp_gt_u32_e32 vcc_lo, 28, v31
	ds_bpermute_b32 v4, v4, v6
	v_add_lshl_u32 v5, v5, v31, 2
	v_cndmask_b32_e64 v7, 0, 4, vcc_lo
	v_cmp_gt_u32_e32 vcc_lo, 24, v31
	s_delay_alu instid0(VALU_DEP_2)
	v_add_lshl_u32 v7, v7, v31, 2
	s_wait_dscnt 0x0
	v_add_f32_e32 v4, v6, v4
	ds_bpermute_b32 v5, v5, v4
	s_wait_dscnt 0x0
	v_add_f32_e32 v4, v4, v5
	ds_bpermute_b32 v5, v7, v4
	v_cndmask_b32_e64 v7, 0, 8, vcc_lo
	s_wait_dscnt 0x0
	v_add_f32_e32 v4, v4, v5
	s_delay_alu instid0(VALU_DEP_2)
	v_add_lshl_u32 v5, v7, v31, 2
	ds_bpermute_b32 v5, v5, v4
	s_wait_dscnt 0x0
	v_add_f32_e32 v4, v4, v5
	ds_bpermute_b32 v5, v33, v4
	s_wait_dscnt 0x0
	v_add_f32_e32 v4, v4, v5
	s_and_saveexec_b32 s19, s3
; %bb.19:                               ;   in Loop: Header=BB24_13 Depth=1
	ds_store_b32 v30, v4 offset:8192
; %bb.20:                               ;   in Loop: Header=BB24_13 Depth=1
	s_or_b32 exec_lo, exec_lo, s19
	s_mov_b32 s24, 0
	s_mov_b32 s19, 0
	s_wait_dscnt 0x0
	s_barrier_signal -1
	s_barrier_wait -1
                                        ; implicit-def: $vgpr5
	s_and_saveexec_b32 s25, s1
	s_delay_alu instid0(SALU_CYCLE_1)
	s_xor_b32 s25, exec_lo, s25
	s_cbranch_execz .LBB24_22
; %bb.21:                               ;   in Loop: Header=BB24_13 Depth=1
	ds_load_2addr_b32 v[24:25], v34 offset1:1
	ds_load_2addr_b32 v[26:27], v35 offset1:1
	;; [unrolled: 1-line block ×4, first 2 shown]
	s_mov_b32 s19, exec_lo
	s_wait_dscnt 0x3
	v_add_f32_e32 v4, v4, v24
	s_delay_alu instid0(VALU_DEP_1) | instskip(SKIP_3) | instid1(VALU_DEP_1)
	v_add_f32_e32 v4, v4, v25
	ds_load_2addr_b32 v[24:25], v39 offset1:1
	s_wait_dscnt 0x3
	v_add_f32_e32 v4, v4, v26
	v_add_f32_e32 v7, v4, v27
	ds_load_2addr_b32 v[4:5], v38 offset1:1
	s_wait_dscnt 0x3
	v_add_f32_e32 v7, v7, v28
	s_delay_alu instid0(VALU_DEP_1) | instskip(SKIP_4) | instid1(VALU_DEP_1)
	v_add_f32_e32 v7, v7, v29
	ds_load_2addr_b32 v[26:27], v40 offset1:1
	ds_load_2addr_b32 v[28:29], v41 offset1:1
	s_wait_dscnt 0x4
	v_add_f32_e32 v7, v7, v50
	v_add_f32_e32 v7, v7, v51
	s_wait_dscnt 0x2
	s_delay_alu instid0(VALU_DEP_1) | instskip(NEXT) | instid1(VALU_DEP_1)
	v_add_f32_e32 v4, v7, v4
	v_add_f32_e32 v4, v4, v5
	s_delay_alu instid0(VALU_DEP_1) | instskip(NEXT) | instid1(VALU_DEP_1)
	v_add_f32_e32 v4, v4, v24
	v_add_f32_e32 v7, v4, v25
	ds_load_2addr_b32 v[4:5], v42 offset1:1
	ds_load_2addr_b32 v[24:25], v43 offset1:1
	s_wait_dscnt 0x3
	v_add_f32_e32 v7, v7, v26
	s_delay_alu instid0(VALU_DEP_1) | instskip(SKIP_1) | instid1(VALU_DEP_1)
	v_add_f32_e32 v7, v7, v27
	s_wait_dscnt 0x2
	v_add_f32_e32 v7, v7, v28
	s_delay_alu instid0(VALU_DEP_1) | instskip(SKIP_4) | instid1(VALU_DEP_1)
	v_add_f32_e32 v7, v7, v29
	ds_load_2addr_b32 v[26:27], v44 offset1:1
	ds_load_2addr_b32 v[28:29], v45 offset1:1
	s_wait_dscnt 0x3
	v_add_f32_e32 v4, v7, v4
	v_add_f32_e32 v4, v4, v5
	s_wait_dscnt 0x2
	s_delay_alu instid0(VALU_DEP_1) | instskip(NEXT) | instid1(VALU_DEP_1)
	v_add_f32_e32 v4, v4, v24
	v_add_f32_e32 v4, v4, v25
	ds_load_2addr_b32 v[24:25], v47 offset1:1
	s_wait_dscnt 0x2
	v_add_f32_e32 v7, v4, v26
	ds_load_2addr_b32 v[4:5], v46 offset1:1
	v_add_f32_e32 v7, v7, v27
	s_wait_dscnt 0x2
	s_delay_alu instid0(VALU_DEP_1) | instskip(SKIP_4) | instid1(VALU_DEP_1)
	v_add_f32_e32 v7, v7, v28
	ds_load_2addr_b32 v[26:27], v48 offset1:1
	ds_load_b32 v28, v9 offset:8316
	v_add_f32_e32 v7, v7, v29
	s_wait_dscnt 0x2
	v_add_f32_e32 v4, v7, v4
	s_delay_alu instid0(VALU_DEP_1) | instskip(NEXT) | instid1(VALU_DEP_1)
	v_add_f32_e32 v4, v4, v5
	v_add_f32_e32 v4, v4, v24
	s_delay_alu instid0(VALU_DEP_1) | instskip(SKIP_1) | instid1(VALU_DEP_1)
	v_add_f32_e32 v4, v4, v25
	s_wait_dscnt 0x1
	v_add_f32_e32 v4, v4, v26
	s_delay_alu instid0(VALU_DEP_1) | instskip(SKIP_1) | instid1(VALU_DEP_1)
	v_add_f32_e32 v4, v4, v27
	s_wait_dscnt 0x0
	v_add_f32_e32 v5, v4, v28
.LBB24_22:                              ;   in Loop: Header=BB24_13 Depth=1
	s_or_b32 exec_lo, exec_lo, s25
	s_delay_alu instid0(SALU_CYCLE_1)
	s_and_b32 vcc_lo, exec_lo, s24
	s_cbranch_vccnz .LBB24_25
.LBB24_23:                              ;   in Loop: Header=BB24_13 Depth=1
	s_delay_alu instid0(VALU_DEP_1)
	v_mov_b32_e32 v6, v5
	s_and_saveexec_b32 s24, s19
	s_cbranch_execnz .LBB24_26
	s_branch .LBB24_27
.LBB24_24:                              ;   in Loop: Header=BB24_13 Depth=1
	s_mov_b32 s19, 0
                                        ; implicit-def: $vgpr5
	s_cbranch_execz .LBB24_23
.LBB24_25:                              ;   in Loop: Header=BB24_13 Depth=1
	s_and_not1_b32 s19, s19, exec_lo
	s_and_b32 s24, s1, exec_lo
	s_delay_alu instid0(SALU_CYCLE_1) | instskip(NEXT) | instid1(SALU_CYCLE_1)
	s_or_b32 s19, s19, s24
	s_and_saveexec_b32 s24, s19
.LBB24_26:                              ;   in Loop: Header=BB24_13 Depth=1
	ds_store_b32 v9, v6 offset:8192
.LBB24_27:                              ;   in Loop: Header=BB24_13 Depth=1
	s_or_b32 exec_lo, exec_lo, s24
	s_wait_dscnt 0x0
	s_barrier_signal -1
	s_barrier_wait -1
	s_and_saveexec_b32 s19, s2
	s_cbranch_execz .LBB24_12
; %bb.28:                               ;   in Loop: Header=BB24_13 Depth=1
	global_load_b32 v4, v9, s[20:21]
	ds_load_b32 v6, v9 offset:8192
	s_mov_b32 s25, s23
	s_wait_loadcnt 0x0
	v_xor_b32_e32 v7, 0x80000000, v4
	v_mov_b64_e32 v[4:5], v[0:1]
	s_wait_dscnt 0x0
	s_delay_alu instid0(VALU_DEP_2)
	v_mul_f32_e32 v24, v6, v7
	v_mov_b64_e32 v[6:7], v[8:9]
	s_wait_xcnt 0x0
	s_and_saveexec_b32 s24, s4
	s_cbranch_execz .LBB24_36
; %bb.29:                               ;   in Loop: Header=BB24_13 Depth=1
	v_mad_nc_u64_u32 v[4:5], s14, s16, v[16:17]
	s_mul_i32 s25, s15, s16
	s_mul_i32 s26, s14, s17
	s_delay_alu instid0(VALU_DEP_1) | instid1(SALU_CYCLE_1)
	v_add3_u32 v5, s26, s25, v5
	s_mov_b32 s26, -1
	s_delay_alu instid0(VALU_DEP_1) | instskip(NEXT) | instid1(VALU_DEP_1)
	v_add_nc_u64_e32 v[6:7], v[4:5], v[10:11]
	v_cmp_ge_u64_e32 vcc_lo, v[6:7], v[4:5]
	v_mov_b64_e32 v[4:5], v[0:1]
	v_mov_b64_e32 v[6:7], v[8:9]
	s_and_b32 s27, vcc_lo, s18
	s_delay_alu instid0(SALU_CYCLE_1)
	s_and_saveexec_b32 s25, s27
	s_cbranch_execz .LBB24_35
; %bb.30:                               ;   in Loop: Header=BB24_13 Depth=1
	v_mov_b64_e32 v[6:7], v[2:3]
	v_mov_b64_e32 v[26:27], v[12:13]
	;; [unrolled: 1-line block ×4, first 2 shown]
	v_mov_b32_e32 v25, v24
	s_mov_b32 s26, 0
.LBB24_31:                              ;   Parent Loop BB24_13 Depth=1
                                        ; =>  This Inner Loop Header: Depth=2
	s_clause 0x1
	global_load_b32 v50, v[28:29], off offset:-4096
	global_load_b32 v51, v[28:29], off
	v_dual_lshlrev_b32 v49, 2, v4 :: v_dual_lshlrev_b32 v53, 2, v6
	v_add_nc_u64_e32 v[26:27], -2, v[26:27]
	v_add_nc_u64_e32 v[6:7], 0x800, v[6:7]
	ds_load_b32 v52, v49
	ds_load_b32 v53, v53
	v_add_nc_u64_e32 v[4:5], 0x800, v[4:5]
	v_cmp_eq_u64_e32 vcc_lo, 0, v[26:27]
	s_or_b32 s26, vcc_lo, s26
	s_wait_loadcnt_dscnt 0x0
	v_pk_fma_f32 v[50:51], v[24:25], v[52:53], v[50:51]
	s_clause 0x1
	global_store_b32 v[28:29], v50, off offset:-4096
	global_store_b32 v[28:29], v51, off
	s_wait_xcnt 0x0
	v_add_nc_u64_e32 v[28:29], 0x2000, v[28:29]
	s_and_not1_b32 exec_lo, exec_lo, s26
	s_cbranch_execnz .LBB24_31
; %bb.32:                               ;   in Loop: Header=BB24_13 Depth=1
	s_or_b32 exec_lo, exec_lo, s26
	s_mov_b32 s26, 0
	s_and_saveexec_b32 s27, s5
; %bb.33:                               ;   in Loop: Header=BB24_13 Depth=1
	s_mov_b32 s26, exec_lo
; %bb.34:                               ;   in Loop: Header=BB24_13 Depth=1
	s_or_b32 exec_lo, exec_lo, s27
	v_mov_b64_e32 v[4:5], v[14:15]
	v_mov_b64_e32 v[6:7], v[22:23]
	s_or_not1_b32 s26, s26, exec_lo
.LBB24_35:                              ;   in Loop: Header=BB24_13 Depth=1
	s_or_b32 exec_lo, exec_lo, s25
	s_delay_alu instid0(SALU_CYCLE_1) | instskip(SKIP_1) | instid1(SALU_CYCLE_1)
	s_and_not1_b32 s25, s23, exec_lo
	s_and_b32 s26, s26, exec_lo
	s_or_b32 s25, s25, s26
.LBB24_36:                              ;   in Loop: Header=BB24_13 Depth=1
	s_or_b32 exec_lo, exec_lo, s24
	s_delay_alu instid0(SALU_CYCLE_1)
	s_and_b32 exec_lo, exec_lo, s25
	s_cbranch_execz .LBB24_12
; %bb.37:                               ;   in Loop: Header=BB24_13 Depth=1
	v_add_nc_u64_e32 v[6:7], s[12:13], v[6:7]
	v_lshlrev_b32_e32 v25, 2, v4
	s_mov_b32 s24, 0
.LBB24_38:                              ;   Parent Loop BB24_13 Depth=1
                                        ; =>  This Inner Loop Header: Depth=2
	global_load_b32 v26, v[6:7], off
	ds_load_b32 v27, v25
	v_add_nc_u64_e32 v[4:5], 0x400, v[4:5]
	v_add_nc_u32_e32 v25, 0x1000, v25
	s_delay_alu instid0(VALU_DEP_2)
	v_cmp_le_i64_e32 vcc_lo, s[8:9], v[4:5]
	s_or_b32 s24, vcc_lo, s24
	s_wait_loadcnt_dscnt 0x0
	v_fmac_f32_e32 v26, v24, v27
	global_store_b32 v[6:7], v26, off
	s_wait_xcnt 0x0
	v_add_nc_u64_e32 v[6:7], 0x1000, v[6:7]
	s_and_not1_b32 exec_lo, exec_lo, s24
	s_cbranch_execnz .LBB24_38
	s_branch .LBB24_12
.LBB24_39:
	s_endpgm
	.section	.rodata,"a",@progbits
	.p2align	6, 0x0
	.amdhsa_kernel _ZN9rocsolver6v33100L22larf_left_kernel_smallILi1024EflPfEEvT1_S3_T2_lS3_lPKT0_lS4_lS3_l
		.amdhsa_group_segment_fixed_size 12288
		.amdhsa_private_segment_fixed_size 0
		.amdhsa_kernarg_size 96
		.amdhsa_user_sgpr_count 2
		.amdhsa_user_sgpr_dispatch_ptr 0
		.amdhsa_user_sgpr_queue_ptr 0
		.amdhsa_user_sgpr_kernarg_segment_ptr 1
		.amdhsa_user_sgpr_dispatch_id 0
		.amdhsa_user_sgpr_kernarg_preload_length 0
		.amdhsa_user_sgpr_kernarg_preload_offset 0
		.amdhsa_user_sgpr_private_segment_size 0
		.amdhsa_wavefront_size32 1
		.amdhsa_uses_dynamic_stack 0
		.amdhsa_enable_private_segment 0
		.amdhsa_system_sgpr_workgroup_id_x 1
		.amdhsa_system_sgpr_workgroup_id_y 1
		.amdhsa_system_sgpr_workgroup_id_z 0
		.amdhsa_system_sgpr_workgroup_info 0
		.amdhsa_system_vgpr_workitem_id 0
		.amdhsa_next_free_vgpr 54
		.amdhsa_next_free_sgpr 36
		.amdhsa_named_barrier_count 0
		.amdhsa_reserve_vcc 1
		.amdhsa_float_round_mode_32 0
		.amdhsa_float_round_mode_16_64 0
		.amdhsa_float_denorm_mode_32 3
		.amdhsa_float_denorm_mode_16_64 3
		.amdhsa_fp16_overflow 0
		.amdhsa_memory_ordered 1
		.amdhsa_forward_progress 1
		.amdhsa_inst_pref_size 19
		.amdhsa_round_robin_scheduling 0
		.amdhsa_exception_fp_ieee_invalid_op 0
		.amdhsa_exception_fp_denorm_src 0
		.amdhsa_exception_fp_ieee_div_zero 0
		.amdhsa_exception_fp_ieee_overflow 0
		.amdhsa_exception_fp_ieee_underflow 0
		.amdhsa_exception_fp_ieee_inexact 0
		.amdhsa_exception_int_div_zero 0
	.end_amdhsa_kernel
	.section	.text._ZN9rocsolver6v33100L22larf_left_kernel_smallILi1024EflPfEEvT1_S3_T2_lS3_lPKT0_lS4_lS3_l,"axG",@progbits,_ZN9rocsolver6v33100L22larf_left_kernel_smallILi1024EflPfEEvT1_S3_T2_lS3_lPKT0_lS4_lS3_l,comdat
.Lfunc_end24:
	.size	_ZN9rocsolver6v33100L22larf_left_kernel_smallILi1024EflPfEEvT1_S3_T2_lS3_lPKT0_lS4_lS3_l, .Lfunc_end24-_ZN9rocsolver6v33100L22larf_left_kernel_smallILi1024EflPfEEvT1_S3_T2_lS3_lPKT0_lS4_lS3_l
                                        ; -- End function
	.set _ZN9rocsolver6v33100L22larf_left_kernel_smallILi1024EflPfEEvT1_S3_T2_lS3_lPKT0_lS4_lS3_l.num_vgpr, 54
	.set _ZN9rocsolver6v33100L22larf_left_kernel_smallILi1024EflPfEEvT1_S3_T2_lS3_lPKT0_lS4_lS3_l.num_agpr, 0
	.set _ZN9rocsolver6v33100L22larf_left_kernel_smallILi1024EflPfEEvT1_S3_T2_lS3_lPKT0_lS4_lS3_l.numbered_sgpr, 36
	.set _ZN9rocsolver6v33100L22larf_left_kernel_smallILi1024EflPfEEvT1_S3_T2_lS3_lPKT0_lS4_lS3_l.num_named_barrier, 0
	.set _ZN9rocsolver6v33100L22larf_left_kernel_smallILi1024EflPfEEvT1_S3_T2_lS3_lPKT0_lS4_lS3_l.private_seg_size, 0
	.set _ZN9rocsolver6v33100L22larf_left_kernel_smallILi1024EflPfEEvT1_S3_T2_lS3_lPKT0_lS4_lS3_l.uses_vcc, 1
	.set _ZN9rocsolver6v33100L22larf_left_kernel_smallILi1024EflPfEEvT1_S3_T2_lS3_lPKT0_lS4_lS3_l.uses_flat_scratch, 0
	.set _ZN9rocsolver6v33100L22larf_left_kernel_smallILi1024EflPfEEvT1_S3_T2_lS3_lPKT0_lS4_lS3_l.has_dyn_sized_stack, 0
	.set _ZN9rocsolver6v33100L22larf_left_kernel_smallILi1024EflPfEEvT1_S3_T2_lS3_lPKT0_lS4_lS3_l.has_recursion, 0
	.set _ZN9rocsolver6v33100L22larf_left_kernel_smallILi1024EflPfEEvT1_S3_T2_lS3_lPKT0_lS4_lS3_l.has_indirect_call, 0
	.section	.AMDGPU.csdata,"",@progbits
; Kernel info:
; codeLenInByte = 2356
; TotalNumSgprs: 38
; NumVgprs: 54
; ScratchSize: 0
; MemoryBound: 0
; FloatMode: 240
; IeeeMode: 1
; LDSByteSize: 12288 bytes/workgroup (compile time only)
; SGPRBlocks: 0
; VGPRBlocks: 3
; NumSGPRsForWavesPerEU: 38
; NumVGPRsForWavesPerEU: 54
; NamedBarCnt: 0
; Occupancy: 16
; WaveLimiterHint : 1
; COMPUTE_PGM_RSRC2:SCRATCH_EN: 0
; COMPUTE_PGM_RSRC2:USER_SGPR: 2
; COMPUTE_PGM_RSRC2:TRAP_HANDLER: 0
; COMPUTE_PGM_RSRC2:TGID_X_EN: 1
; COMPUTE_PGM_RSRC2:TGID_Y_EN: 1
; COMPUTE_PGM_RSRC2:TGID_Z_EN: 0
; COMPUTE_PGM_RSRC2:TIDIG_COMP_CNT: 0
	.section	.text._ZN9rocsolver6v33100L23larf_right_kernel_smallILi64EflPfEEvT1_S3_T2_lS3_lPKT0_lS4_lS3_l,"axG",@progbits,_ZN9rocsolver6v33100L23larf_right_kernel_smallILi64EflPfEEvT1_S3_T2_lS3_lPKT0_lS4_lS3_l,comdat
	.globl	_ZN9rocsolver6v33100L23larf_right_kernel_smallILi64EflPfEEvT1_S3_T2_lS3_lPKT0_lS4_lS3_l ; -- Begin function _ZN9rocsolver6v33100L23larf_right_kernel_smallILi64EflPfEEvT1_S3_T2_lS3_lPKT0_lS4_lS3_l
	.p2align	8
	.type	_ZN9rocsolver6v33100L23larf_right_kernel_smallILi64EflPfEEvT1_S3_T2_lS3_lPKT0_lS4_lS3_l,@function
_ZN9rocsolver6v33100L23larf_right_kernel_smallILi64EflPfEEvT1_S3_T2_lS3_lPKT0_lS4_lS3_l: ; @_ZN9rocsolver6v33100L23larf_right_kernel_smallILi64EflPfEEvT1_S3_T2_lS3_lPKT0_lS4_lS3_l
; %bb.0:
	s_load_b512 s[4:19], s[0:1], 0x0
	s_mov_b64 s[24:25], 0
	s_wait_kmcnt 0x0
	v_cmp_gt_i64_e64 s2, s[12:13], 0
	s_and_b32 vcc_lo, exec_lo, s2
	s_cbranch_vccnz .LBB25_2
; %bb.1:
	s_sub_nc_u64 s[2:3], 1, s[6:7]
	s_delay_alu instid0(SALU_CYCLE_1)
	s_mul_u64 s[24:25], s[12:13], s[2:3]
.LBB25_2:
	v_mov_b32_e32 v1, 0
	s_bfe_u32 s2, ttmp6, 0x4000c
	s_and_b32 s20, ttmp6, 15
	s_add_co_i32 s2, s2, 1
	s_getreg_b32 s3, hwreg(HW_REG_IB_STS2, 6, 4)
	s_mul_i32 s21, ttmp9, s2
	v_cmp_gt_i64_e64 s2, s[6:7], v[0:1]
	s_add_co_i32 s20, s20, s21
	s_cmp_eq_u32 s3, 0
	s_mov_b32 s21, 0
	s_cselect_b32 s22, ttmp9, s20
	s_mov_b32 s23, s21
	s_and_saveexec_b32 s20, s2
	s_cbranch_execz .LBB25_10
; %bb.3:
	v_mov_b32_e32 v3, -1
	v_not_b32_e32 v2, v0
	v_mov_b64_e32 v[4:5], v[0:1]
	s_mul_u64 s[14:15], s[14:15], s[22:23]
	s_mov_b32 s26, -1
	s_mov_b32 s30, exec_lo
	v_add_nc_u64_e32 v[2:3], s[6:7], v[2:3]
	s_delay_alu instid0(VALU_DEP_1)
	v_cmpx_lt_u64_e32 63, v[2:3]
	s_cbranch_execz .LBB25_7
; %bb.4:
	v_lshrrev_b64 v[2:3], 6, v[2:3]
	s_lshl_b64 s[26:27], s[14:15], 2
	s_lshl_b64 s[28:29], s[10:11], 2
	s_add_nc_u64 s[26:27], s[8:9], s[26:27]
	s_lshl_b64 s[34:35], s[24:25], 2
	s_add_nc_u64 s[26:27], s[26:27], s[28:29]
	s_mov_b32 s28, s12
	v_add_nc_u64_e32 v[2:3], 1, v[2:3]
	v_mov_b32_e32 v5, 0
	s_add_nc_u64 s[26:27], s[26:27], s[34:35]
	s_mov_b32 s29, s13
	s_mov_b32 s31, 0
	s_delay_alu instid0(VALU_DEP_2) | instskip(NEXT) | instid1(VALU_DEP_3)
	v_dual_mov_b32 v7, v3 :: v_dual_bitop2_b32 v8, 64, v0 bitop3:0x54
	v_dual_mov_b32 v4, v0 :: v_dual_bitop2_b32 v6, -2, v2 bitop3:0x40
	v_mov_b32_e32 v9, v5
	s_delay_alu instid0(VALU_DEP_2)
	v_mov_b64_e32 v[10:11], v[6:7]
.LBB25_5:                               ; =>This Inner Loop Header: Depth=1
	s_delay_alu instid0(VALU_DEP_3) | instskip(NEXT) | instid1(VALU_DEP_3)
	v_mul_u64_e32 v[12:13], s[12:13], v[4:5]
	v_mul_u64_e32 v[14:15], s[28:29], v[8:9]
	s_delay_alu instid0(VALU_DEP_3) | instskip(NEXT) | instid1(VALU_DEP_1)
	v_add_nc_u64_e32 v[10:11], -2, v[10:11]
	v_cmp_eq_u64_e32 vcc_lo, 0, v[10:11]
	s_or_b32 s31, vcc_lo, s31
	s_delay_alu instid0(VALU_DEP_4) | instskip(NEXT) | instid1(VALU_DEP_4)
	v_lshl_add_u64 v[12:13], v[12:13], 2, s[26:27]
	v_lshl_add_u64 v[14:15], v[14:15], 2, s[26:27]
	s_clause 0x1
	global_load_b32 v16, v[12:13], off
	global_load_b32 v17, v[14:15], off
	s_wait_xcnt 0x1
	v_lshlrev_b32_e32 v12, 2, v4
	v_lshlrev_b32_e32 v13, 2, v8
	v_add_nc_u64_e32 v[8:9], 0x80, v[8:9]
	v_add_nc_u64_e32 v[4:5], 0x80, v[4:5]
	s_wait_loadcnt 0x1
	ds_store_b32 v12, v16
	s_wait_loadcnt 0x0
	ds_store_b32 v13, v17
	s_wait_xcnt 0x0
	s_and_not1_b32 exec_lo, exec_lo, s31
	s_cbranch_execnz .LBB25_5
; %bb.6:
	s_or_b32 exec_lo, exec_lo, s31
	v_lshlrev_b64_e32 v[4:5], 6, v[6:7]
	v_cmp_ne_u64_e32 vcc_lo, v[2:3], v[6:7]
	s_delay_alu instid0(VALU_DEP_2)
	v_or_b32_e32 v4, v4, v0
	s_or_not1_b32 s26, vcc_lo, exec_lo
.LBB25_7:
	s_or_b32 exec_lo, exec_lo, s30
	s_delay_alu instid0(SALU_CYCLE_1)
	s_and_b32 exec_lo, exec_lo, s26
	s_cbranch_execz .LBB25_10
; %bb.8:
	v_mul_u64_e32 v[2:3], s[12:13], v[4:5]
	s_lshl_b64 s[10:11], s[10:11], 2
	s_lshl_b64 s[24:25], s[24:25], 2
	s_add_nc_u64 s[8:9], s[8:9], s[10:11]
	s_lshl_b64 s[10:11], s[14:15], 2
	s_add_nc_u64 s[8:9], s[8:9], s[24:25]
	v_lshlrev_b32_e32 v6, 2, v4
	s_add_nc_u64 s[8:9], s[8:9], s[10:11]
	s_mov_b32 s10, 0
	s_delay_alu instid0(VALU_DEP_2)
	v_lshl_add_u64 v[2:3], v[2:3], 2, s[8:9]
	s_lshl_b64 s[8:9], s[12:13], 8
.LBB25_9:                               ; =>This Inner Loop Header: Depth=1
	global_load_b32 v7, v[2:3], off
	v_add_nc_u64_e32 v[4:5], 64, v[4:5]
	s_wait_xcnt 0x0
	v_add_nc_u64_e32 v[2:3], s[8:9], v[2:3]
	s_delay_alu instid0(VALU_DEP_2)
	v_cmp_le_i64_e32 vcc_lo, s[6:7], v[4:5]
	s_or_b32 s10, vcc_lo, s10
	s_wait_loadcnt 0x0
	ds_store_b32 v6, v7
	v_add_nc_u32_e32 v6, 0x100, v6
	s_and_not1_b32 exec_lo, exec_lo, s10
	s_cbranch_execnz .LBB25_9
.LBB25_10:
	s_or_b32 exec_lo, exec_lo, s20
	s_bfe_u32 s8, ttmp6, 0x40010
	s_bfe_u32 s9, ttmp6, 0x40004
	s_add_co_i32 s8, s8, 1
	s_wait_dscnt 0x0
	s_mul_i32 s8, ttmp7, s8
	s_barrier_signal -1
	s_add_co_i32 s9, s9, s8
	s_cmp_eq_u32 s3, 0
	s_barrier_wait -1
	s_cselect_b32 s20, ttmp7, s9
	s_delay_alu instid0(SALU_CYCLE_1)
	v_cmp_le_i64_e64 s3, s[4:5], s[20:21]
	s_and_b32 vcc_lo, exec_lo, s3
	s_cbranch_vccnz .LBB25_30
; %bb.11:
	s_load_b256 s[8:15], s[0:1], 0x40
	s_mul_u64 s[18:19], s[18:19], s[22:23]
	v_dual_lshrrev_b32 v8, 3, v0 :: v_dual_bitop2_b32 v4, 31, v0 bitop3:0x40
	s_lshl_b64 s[24:25], s[18:19], 2
	v_mbcnt_lo_u32_b32 v10, -1, 0
	s_wait_xcnt 0x0
	v_cmp_gt_i32_e64 s0, s6, v0
	v_cmp_eq_u32_e64 s1, 0, v0
	v_dual_lshlrev_b32 v9, 2, v0 :: v_dual_mov_b32 v13, 0
	v_cmp_eq_u32_e64 s3, 0, v4
	v_lshl_or_b32 v11, v10, 2, 64
	s_wait_kmcnt 0x0
	v_mul_u64_e32 v[2:3], s[12:13], v[0:1]
	s_mul_u64 s[14:15], s[14:15], s[22:23]
	s_lshl_b64 s[10:11], s[10:11], 2
	s_lshl_b64 s[14:15], s[14:15], 2
	s_cmp_gt_i32 s6, 1
	v_mul_lo_u32 v12, v0, s12
	s_cselect_b32 s18, -1, 0
	s_lshl_b64 s[22:23], s[20:21], 2
	s_delay_alu instid0(SALU_CYCLE_1)
	s_add_nc_u64 s[22:23], s[8:9], s[22:23]
	s_add_nc_u64 s[8:9], s[8:9], s[14:15]
	;; [unrolled: 1-line block ×6, first 2 shown]
	s_lshl_b32 s16, s12, 6
	s_lshl_b64 s[12:13], s[12:13], 8
	s_delay_alu instid0(VALU_DEP_2)
	v_lshl_add_u64 v[2:3], v[2:3], 2, s[14:15]
	s_branch .LBB25_13
.LBB25_12:                              ;   in Loop: Header=BB25_13 Depth=1
	s_or_b32 exec_lo, exec_lo, s14
	s_add_nc_u64 s[20:21], s[20:21], 64
	v_add_nc_u64_e32 v[2:3], 0x100, v[2:3]
	v_cmp_ge_i64_e64 s14, s[20:21], s[4:5]
	s_and_b32 vcc_lo, exec_lo, s14
	s_cbranch_vccnz .LBB25_30
.LBB25_13:                              ; =>This Loop Header: Depth=1
                                        ;     Child Loop BB25_15 Depth 2
                                        ;     Child Loop BB25_29 Depth 2
	v_mov_b32_e32 v4, 0
	s_and_saveexec_b32 s17, s0
	s_cbranch_execz .LBB25_17
; %bb.14:                               ;   in Loop: Header=BB25_13 Depth=1
	v_dual_mov_b32 v4, 0 :: v_dual_mov_b32 v5, v12
	v_dual_mov_b32 v6, v9 :: v_dual_mov_b32 v7, v0
	s_lshl_b64 s[14:15], s[20:21], 2
	s_mov_b32 s19, 0
	s_add_nc_u64 s[14:15], s[8:9], s[14:15]
.LBB25_15:                              ;   Parent Loop BB25_13 Depth=1
                                        ; =>  This Inner Loop Header: Depth=2
	global_load_b32 v14, v5, s[14:15] scale_offset
	ds_load_b32 v15, v6
	s_wait_xcnt 0x0
	v_dual_add_nc_u32 v7, 64, v7 :: v_dual_add_nc_u32 v5, s16, v5
	v_add_nc_u32_e32 v6, 0x100, v6
	s_delay_alu instid0(VALU_DEP_2)
	v_cmp_le_i32_e32 vcc_lo, s6, v7
	s_or_b32 s19, vcc_lo, s19
	s_wait_loadcnt_dscnt 0x0
	v_fmac_f32_e32 v4, v15, v14
	s_and_not1_b32 exec_lo, exec_lo, s19
	s_cbranch_execnz .LBB25_15
; %bb.16:                               ;   in Loop: Header=BB25_13 Depth=1
	s_or_b32 exec_lo, exec_lo, s19
.LBB25_17:                              ;   in Loop: Header=BB25_13 Depth=1
	s_delay_alu instid0(SALU_CYCLE_1) | instskip(NEXT) | instid1(SALU_CYCLE_1)
	s_or_b32 exec_lo, exec_lo, s17
	s_and_b32 vcc_lo, exec_lo, s18
	s_cbranch_vccz .LBB25_24
; %bb.18:                               ;   in Loop: Header=BB25_13 Depth=1
	v_cmp_ne_u32_e32 vcc_lo, 31, v10
	v_add_co_ci_u32_e64 v5, null, 0, v10, vcc_lo
	v_cmp_gt_u32_e32 vcc_lo, 30, v10
	s_delay_alu instid0(VALU_DEP_2)
	v_lshlrev_b32_e32 v5, 2, v5
	v_cndmask_b32_e64 v6, 0, 2, vcc_lo
	v_cmp_gt_u32_e32 vcc_lo, 28, v10
	ds_bpermute_b32 v5, v5, v4
	v_add_lshl_u32 v6, v6, v10, 2
	v_cndmask_b32_e64 v7, 0, 4, vcc_lo
	v_cmp_gt_u32_e32 vcc_lo, 24, v10
	s_delay_alu instid0(VALU_DEP_2)
	v_add_lshl_u32 v7, v7, v10, 2
	s_wait_dscnt 0x0
	v_add_f32_e32 v5, v4, v5
	ds_bpermute_b32 v6, v6, v5
	s_wait_dscnt 0x0
	v_add_f32_e32 v5, v5, v6
	ds_bpermute_b32 v6, v7, v5
	v_cndmask_b32_e64 v7, 0, 8, vcc_lo
	s_wait_dscnt 0x0
	v_add_f32_e32 v5, v5, v6
	s_delay_alu instid0(VALU_DEP_2)
	v_add_lshl_u32 v6, v7, v10, 2
	ds_bpermute_b32 v6, v6, v5
	s_wait_dscnt 0x0
	v_add_f32_e32 v5, v5, v6
	ds_bpermute_b32 v6, v11, v5
	s_wait_dscnt 0x0
	v_add_f32_e32 v6, v5, v6
	s_and_saveexec_b32 s14, s3
; %bb.19:                               ;   in Loop: Header=BB25_13 Depth=1
	ds_store_b32 v8, v6 offset:8192
; %bb.20:                               ;   in Loop: Header=BB25_13 Depth=1
	s_or_b32 exec_lo, exec_lo, s14
	s_mov_b32 s15, 0
	s_mov_b32 s14, 0
	s_wait_dscnt 0x0
	s_barrier_signal -1
	s_barrier_wait -1
                                        ; implicit-def: $vgpr5
	s_and_saveexec_b32 s17, s1
	s_delay_alu instid0(SALU_CYCLE_1)
	s_xor_b32 s17, exec_lo, s17
	s_cbranch_execz .LBB25_22
; %bb.21:                               ;   in Loop: Header=BB25_13 Depth=1
	ds_load_b32 v5, v13 offset:8196
	s_mov_b32 s14, exec_lo
	s_wait_dscnt 0x0
	v_add_f32_e32 v5, v6, v5
.LBB25_22:                              ;   in Loop: Header=BB25_13 Depth=1
	s_or_b32 exec_lo, exec_lo, s17
	s_delay_alu instid0(SALU_CYCLE_1)
	s_and_b32 vcc_lo, exec_lo, s15
	s_cbranch_vccnz .LBB25_25
.LBB25_23:                              ;   in Loop: Header=BB25_13 Depth=1
	s_delay_alu instid0(VALU_DEP_1)
	v_mov_b32_e32 v4, v5
	s_and_saveexec_b32 s15, s14
	s_cbranch_execnz .LBB25_26
	s_branch .LBB25_27
.LBB25_24:                              ;   in Loop: Header=BB25_13 Depth=1
	s_mov_b32 s14, 0
                                        ; implicit-def: $vgpr5
	s_cbranch_execz .LBB25_23
.LBB25_25:                              ;   in Loop: Header=BB25_13 Depth=1
	s_and_not1_b32 s14, s14, exec_lo
	s_and_b32 s15, s1, exec_lo
	s_delay_alu instid0(SALU_CYCLE_1) | instskip(NEXT) | instid1(SALU_CYCLE_1)
	s_or_b32 s14, s14, s15
	s_and_saveexec_b32 s15, s14
.LBB25_26:                              ;   in Loop: Header=BB25_13 Depth=1
	ds_store_b32 v13, v4 offset:8192
.LBB25_27:                              ;   in Loop: Header=BB25_13 Depth=1
	s_or_b32 exec_lo, exec_lo, s15
	s_wait_dscnt 0x0
	s_barrier_signal -1
	s_barrier_wait -1
	s_and_saveexec_b32 s14, s2
	s_cbranch_execz .LBB25_12
; %bb.28:                               ;   in Loop: Header=BB25_13 Depth=1
	global_load_b32 v4, v13, s[10:11]
	ds_load_b32 v6, v13 offset:8192
	s_mov_b32 s15, 0
	s_wait_loadcnt 0x0
	v_xor_b32_e32 v7, 0x80000000, v4
	v_mov_b32_e32 v14, v9
	v_mov_b64_e32 v[4:5], v[2:3]
	s_wait_dscnt 0x0
	s_delay_alu instid0(VALU_DEP_3)
	v_mul_f32_e32 v15, v6, v7
	v_mov_b64_e32 v[6:7], v[0:1]
.LBB25_29:                              ;   Parent Loop BB25_13 Depth=1
                                        ; =>  This Inner Loop Header: Depth=2
	global_load_b32 v16, v[4:5], off
	ds_load_b32 v17, v14
	v_add_nc_u64_e32 v[6:7], 64, v[6:7]
	v_add_nc_u32_e32 v14, 0x100, v14
	s_delay_alu instid0(VALU_DEP_2)
	v_cmp_le_i64_e32 vcc_lo, s[6:7], v[6:7]
	s_or_b32 s15, vcc_lo, s15
	s_wait_loadcnt_dscnt 0x0
	v_fmac_f32_e32 v16, v15, v17
	global_store_b32 v[4:5], v16, off
	s_wait_xcnt 0x0
	v_add_nc_u64_e32 v[4:5], s[12:13], v[4:5]
	s_and_not1_b32 exec_lo, exec_lo, s15
	s_cbranch_execnz .LBB25_29
	s_branch .LBB25_12
.LBB25_30:
	s_endpgm
	.section	.rodata,"a",@progbits
	.p2align	6, 0x0
	.amdhsa_kernel _ZN9rocsolver6v33100L23larf_right_kernel_smallILi64EflPfEEvT1_S3_T2_lS3_lPKT0_lS4_lS3_l
		.amdhsa_group_segment_fixed_size 8200
		.amdhsa_private_segment_fixed_size 0
		.amdhsa_kernarg_size 96
		.amdhsa_user_sgpr_count 2
		.amdhsa_user_sgpr_dispatch_ptr 0
		.amdhsa_user_sgpr_queue_ptr 0
		.amdhsa_user_sgpr_kernarg_segment_ptr 1
		.amdhsa_user_sgpr_dispatch_id 0
		.amdhsa_user_sgpr_kernarg_preload_length 0
		.amdhsa_user_sgpr_kernarg_preload_offset 0
		.amdhsa_user_sgpr_private_segment_size 0
		.amdhsa_wavefront_size32 1
		.amdhsa_uses_dynamic_stack 0
		.amdhsa_enable_private_segment 0
		.amdhsa_system_sgpr_workgroup_id_x 1
		.amdhsa_system_sgpr_workgroup_id_y 1
		.amdhsa_system_sgpr_workgroup_id_z 0
		.amdhsa_system_sgpr_workgroup_info 0
		.amdhsa_system_vgpr_workitem_id 0
		.amdhsa_next_free_vgpr 81
		.amdhsa_next_free_sgpr 36
		.amdhsa_named_barrier_count 0
		.amdhsa_reserve_vcc 1
		.amdhsa_float_round_mode_32 0
		.amdhsa_float_round_mode_16_64 0
		.amdhsa_float_denorm_mode_32 3
		.amdhsa_float_denorm_mode_16_64 3
		.amdhsa_fp16_overflow 0
		.amdhsa_memory_ordered 1
		.amdhsa_forward_progress 1
		.amdhsa_inst_pref_size 12
		.amdhsa_round_robin_scheduling 0
		.amdhsa_exception_fp_ieee_invalid_op 0
		.amdhsa_exception_fp_denorm_src 0
		.amdhsa_exception_fp_ieee_div_zero 0
		.amdhsa_exception_fp_ieee_overflow 0
		.amdhsa_exception_fp_ieee_underflow 0
		.amdhsa_exception_fp_ieee_inexact 0
		.amdhsa_exception_int_div_zero 0
	.end_amdhsa_kernel
	.section	.text._ZN9rocsolver6v33100L23larf_right_kernel_smallILi64EflPfEEvT1_S3_T2_lS3_lPKT0_lS4_lS3_l,"axG",@progbits,_ZN9rocsolver6v33100L23larf_right_kernel_smallILi64EflPfEEvT1_S3_T2_lS3_lPKT0_lS4_lS3_l,comdat
.Lfunc_end25:
	.size	_ZN9rocsolver6v33100L23larf_right_kernel_smallILi64EflPfEEvT1_S3_T2_lS3_lPKT0_lS4_lS3_l, .Lfunc_end25-_ZN9rocsolver6v33100L23larf_right_kernel_smallILi64EflPfEEvT1_S3_T2_lS3_lPKT0_lS4_lS3_l
                                        ; -- End function
	.set _ZN9rocsolver6v33100L23larf_right_kernel_smallILi64EflPfEEvT1_S3_T2_lS3_lPKT0_lS4_lS3_l.num_vgpr, 18
	.set _ZN9rocsolver6v33100L23larf_right_kernel_smallILi64EflPfEEvT1_S3_T2_lS3_lPKT0_lS4_lS3_l.num_agpr, 0
	.set _ZN9rocsolver6v33100L23larf_right_kernel_smallILi64EflPfEEvT1_S3_T2_lS3_lPKT0_lS4_lS3_l.numbered_sgpr, 36
	.set _ZN9rocsolver6v33100L23larf_right_kernel_smallILi64EflPfEEvT1_S3_T2_lS3_lPKT0_lS4_lS3_l.num_named_barrier, 0
	.set _ZN9rocsolver6v33100L23larf_right_kernel_smallILi64EflPfEEvT1_S3_T2_lS3_lPKT0_lS4_lS3_l.private_seg_size, 0
	.set _ZN9rocsolver6v33100L23larf_right_kernel_smallILi64EflPfEEvT1_S3_T2_lS3_lPKT0_lS4_lS3_l.uses_vcc, 1
	.set _ZN9rocsolver6v33100L23larf_right_kernel_smallILi64EflPfEEvT1_S3_T2_lS3_lPKT0_lS4_lS3_l.uses_flat_scratch, 0
	.set _ZN9rocsolver6v33100L23larf_right_kernel_smallILi64EflPfEEvT1_S3_T2_lS3_lPKT0_lS4_lS3_l.has_dyn_sized_stack, 0
	.set _ZN9rocsolver6v33100L23larf_right_kernel_smallILi64EflPfEEvT1_S3_T2_lS3_lPKT0_lS4_lS3_l.has_recursion, 0
	.set _ZN9rocsolver6v33100L23larf_right_kernel_smallILi64EflPfEEvT1_S3_T2_lS3_lPKT0_lS4_lS3_l.has_indirect_call, 0
	.section	.AMDGPU.csdata,"",@progbits
; Kernel info:
; codeLenInByte = 1432
; TotalNumSgprs: 38
; NumVgprs: 18
; ScratchSize: 0
; MemoryBound: 0
; FloatMode: 240
; IeeeMode: 1
; LDSByteSize: 8200 bytes/workgroup (compile time only)
; SGPRBlocks: 0
; VGPRBlocks: 5
; NumSGPRsForWavesPerEU: 38
; NumVGPRsForWavesPerEU: 81
; NamedBarCnt: 0
; Occupancy: 10
; WaveLimiterHint : 0
; COMPUTE_PGM_RSRC2:SCRATCH_EN: 0
; COMPUTE_PGM_RSRC2:USER_SGPR: 2
; COMPUTE_PGM_RSRC2:TRAP_HANDLER: 0
; COMPUTE_PGM_RSRC2:TGID_X_EN: 1
; COMPUTE_PGM_RSRC2:TGID_Y_EN: 1
; COMPUTE_PGM_RSRC2:TGID_Z_EN: 0
; COMPUTE_PGM_RSRC2:TIDIG_COMP_CNT: 0
	.section	.text._ZN9rocsolver6v33100L23larf_right_kernel_smallILi128EflPfEEvT1_S3_T2_lS3_lPKT0_lS4_lS3_l,"axG",@progbits,_ZN9rocsolver6v33100L23larf_right_kernel_smallILi128EflPfEEvT1_S3_T2_lS3_lPKT0_lS4_lS3_l,comdat
	.globl	_ZN9rocsolver6v33100L23larf_right_kernel_smallILi128EflPfEEvT1_S3_T2_lS3_lPKT0_lS4_lS3_l ; -- Begin function _ZN9rocsolver6v33100L23larf_right_kernel_smallILi128EflPfEEvT1_S3_T2_lS3_lPKT0_lS4_lS3_l
	.p2align	8
	.type	_ZN9rocsolver6v33100L23larf_right_kernel_smallILi128EflPfEEvT1_S3_T2_lS3_lPKT0_lS4_lS3_l,@function
_ZN9rocsolver6v33100L23larf_right_kernel_smallILi128EflPfEEvT1_S3_T2_lS3_lPKT0_lS4_lS3_l: ; @_ZN9rocsolver6v33100L23larf_right_kernel_smallILi128EflPfEEvT1_S3_T2_lS3_lPKT0_lS4_lS3_l
; %bb.0:
	s_load_b512 s[4:19], s[0:1], 0x0
	s_mov_b64 s[24:25], 0
	s_wait_kmcnt 0x0
	v_cmp_gt_i64_e64 s2, s[12:13], 0
	s_and_b32 vcc_lo, exec_lo, s2
	s_cbranch_vccnz .LBB26_2
; %bb.1:
	s_sub_nc_u64 s[2:3], 1, s[6:7]
	s_delay_alu instid0(SALU_CYCLE_1)
	s_mul_u64 s[24:25], s[12:13], s[2:3]
.LBB26_2:
	v_mov_b32_e32 v1, 0
	s_bfe_u32 s2, ttmp6, 0x4000c
	s_and_b32 s20, ttmp6, 15
	s_add_co_i32 s2, s2, 1
	s_getreg_b32 s3, hwreg(HW_REG_IB_STS2, 6, 4)
	s_mul_i32 s21, ttmp9, s2
	v_cmp_gt_i64_e64 s2, s[6:7], v[0:1]
	s_add_co_i32 s20, s20, s21
	s_cmp_eq_u32 s3, 0
	s_mov_b32 s21, 0
	s_cselect_b32 s22, ttmp9, s20
	s_mov_b32 s23, s21
	s_and_saveexec_b32 s20, s2
	s_cbranch_execz .LBB26_10
; %bb.3:
	v_mov_b32_e32 v3, -1
	v_not_b32_e32 v2, v0
	v_mov_b64_e32 v[4:5], v[0:1]
	s_mul_u64 s[14:15], s[14:15], s[22:23]
	s_mov_b32 s26, -1
	s_mov_b32 s30, exec_lo
	v_add_nc_u64_e32 v[2:3], s[6:7], v[2:3]
	s_delay_alu instid0(VALU_DEP_1)
	v_cmpx_lt_u64_e32 0x7f, v[2:3]
	s_cbranch_execz .LBB26_7
; %bb.4:
	v_lshrrev_b64 v[2:3], 7, v[2:3]
	s_lshl_b64 s[26:27], s[14:15], 2
	s_lshl_b64 s[28:29], s[10:11], 2
	s_add_nc_u64 s[26:27], s[8:9], s[26:27]
	v_or_b32_e32 v8, 0x80, v0
	s_lshl_b64 s[34:35], s[24:25], 2
	s_add_nc_u64 s[26:27], s[26:27], s[28:29]
	v_add_nc_u64_e32 v[2:3], 1, v[2:3]
	v_mov_b32_e32 v5, 0
	s_add_nc_u64 s[26:27], s[26:27], s[34:35]
	s_mov_b32 s28, s12
	s_mov_b32 s29, s13
	;; [unrolled: 1-line block ×3, first 2 shown]
	s_delay_alu instid0(VALU_DEP_2) | instskip(SKIP_1) | instid1(VALU_DEP_1)
	v_dual_mov_b32 v4, v0 :: v_dual_mov_b32 v7, v3
	v_dual_mov_b32 v9, v5 :: v_dual_bitop2_b32 v6, -2, v2 bitop3:0x40
	v_mov_b64_e32 v[10:11], v[6:7]
.LBB26_5:                               ; =>This Inner Loop Header: Depth=1
	s_delay_alu instid0(VALU_DEP_3) | instskip(NEXT) | instid1(VALU_DEP_3)
	v_mul_u64_e32 v[12:13], s[12:13], v[4:5]
	v_mul_u64_e32 v[14:15], s[28:29], v[8:9]
	s_delay_alu instid0(VALU_DEP_3) | instskip(NEXT) | instid1(VALU_DEP_1)
	v_add_nc_u64_e32 v[10:11], -2, v[10:11]
	v_cmp_eq_u64_e32 vcc_lo, 0, v[10:11]
	s_or_b32 s31, vcc_lo, s31
	s_delay_alu instid0(VALU_DEP_4) | instskip(NEXT) | instid1(VALU_DEP_4)
	v_lshl_add_u64 v[12:13], v[12:13], 2, s[26:27]
	v_lshl_add_u64 v[14:15], v[14:15], 2, s[26:27]
	s_clause 0x1
	global_load_b32 v16, v[12:13], off
	global_load_b32 v17, v[14:15], off
	s_wait_xcnt 0x1
	v_lshlrev_b32_e32 v12, 2, v4
	v_lshlrev_b32_e32 v13, 2, v8
	v_add_nc_u64_e32 v[8:9], 0x100, v[8:9]
	v_add_nc_u64_e32 v[4:5], 0x100, v[4:5]
	s_wait_loadcnt 0x1
	ds_store_b32 v12, v16
	s_wait_loadcnt 0x0
	ds_store_b32 v13, v17
	s_wait_xcnt 0x0
	s_and_not1_b32 exec_lo, exec_lo, s31
	s_cbranch_execnz .LBB26_5
; %bb.6:
	s_or_b32 exec_lo, exec_lo, s31
	v_lshlrev_b64_e32 v[4:5], 7, v[6:7]
	v_cmp_ne_u64_e32 vcc_lo, v[2:3], v[6:7]
	s_delay_alu instid0(VALU_DEP_2)
	v_or_b32_e32 v4, v4, v0
	s_or_not1_b32 s26, vcc_lo, exec_lo
.LBB26_7:
	s_or_b32 exec_lo, exec_lo, s30
	s_delay_alu instid0(SALU_CYCLE_1)
	s_and_b32 exec_lo, exec_lo, s26
	s_cbranch_execz .LBB26_10
; %bb.8:
	v_mul_u64_e32 v[2:3], s[12:13], v[4:5]
	s_lshl_b64 s[10:11], s[10:11], 2
	s_lshl_b64 s[24:25], s[24:25], 2
	s_add_nc_u64 s[8:9], s[8:9], s[10:11]
	s_lshl_b64 s[10:11], s[14:15], 2
	s_add_nc_u64 s[8:9], s[8:9], s[24:25]
	v_lshlrev_b32_e32 v6, 2, v4
	s_add_nc_u64 s[8:9], s[8:9], s[10:11]
	s_mov_b32 s10, 0
	s_delay_alu instid0(VALU_DEP_2)
	v_lshl_add_u64 v[2:3], v[2:3], 2, s[8:9]
	s_lshl_b64 s[8:9], s[12:13], 9
.LBB26_9:                               ; =>This Inner Loop Header: Depth=1
	global_load_b32 v7, v[2:3], off
	v_add_nc_u64_e32 v[4:5], 0x80, v[4:5]
	s_wait_xcnt 0x0
	v_add_nc_u64_e32 v[2:3], s[8:9], v[2:3]
	s_delay_alu instid0(VALU_DEP_2)
	v_cmp_le_i64_e32 vcc_lo, s[6:7], v[4:5]
	s_or_b32 s10, vcc_lo, s10
	s_wait_loadcnt 0x0
	ds_store_b32 v6, v7
	v_add_nc_u32_e32 v6, 0x200, v6
	s_and_not1_b32 exec_lo, exec_lo, s10
	s_cbranch_execnz .LBB26_9
.LBB26_10:
	s_or_b32 exec_lo, exec_lo, s20
	s_bfe_u32 s8, ttmp6, 0x40010
	s_bfe_u32 s9, ttmp6, 0x40004
	s_add_co_i32 s8, s8, 1
	s_wait_dscnt 0x0
	s_mul_i32 s8, ttmp7, s8
	s_barrier_signal -1
	s_add_co_i32 s9, s9, s8
	s_cmp_eq_u32 s3, 0
	s_barrier_wait -1
	s_cselect_b32 s20, ttmp7, s9
	s_delay_alu instid0(SALU_CYCLE_1)
	v_cmp_le_i64_e64 s3, s[4:5], s[20:21]
	s_and_b32 vcc_lo, exec_lo, s3
	s_cbranch_vccnz .LBB26_30
; %bb.11:
	s_load_b256 s[8:15], s[0:1], 0x40
	s_mul_u64 s[18:19], s[18:19], s[22:23]
	v_dual_lshrrev_b32 v8, 3, v0 :: v_dual_bitop2_b32 v4, 31, v0 bitop3:0x40
	s_lshl_b64 s[24:25], s[18:19], 2
	v_mbcnt_lo_u32_b32 v10, -1, 0
	s_wait_xcnt 0x0
	v_cmp_gt_i32_e64 s0, s6, v0
	v_cmp_eq_u32_e64 s1, 0, v0
	v_dual_mov_b32 v14, 0 :: v_dual_lshlrev_b32 v9, 2, v0
	v_mov_b32_e32 v11, 0x2004
	v_cmp_eq_u32_e64 s3, 0, v4
	v_lshl_or_b32 v12, v10, 2, 64
	s_wait_kmcnt 0x0
	v_mul_u64_e32 v[2:3], s[12:13], v[0:1]
	s_mul_u64 s[14:15], s[14:15], s[22:23]
	s_lshl_b64 s[10:11], s[10:11], 2
	s_lshl_b64 s[14:15], s[14:15], 2
	s_cmp_gt_i32 s6, 1
	v_mul_lo_u32 v13, v0, s12
	s_cselect_b32 s18, -1, 0
	s_lshl_b64 s[22:23], s[20:21], 2
	s_delay_alu instid0(SALU_CYCLE_1)
	s_add_nc_u64 s[22:23], s[8:9], s[22:23]
	s_add_nc_u64 s[8:9], s[8:9], s[14:15]
	;; [unrolled: 1-line block ×6, first 2 shown]
	s_lshl_b32 s16, s12, 7
	s_lshl_b64 s[12:13], s[12:13], 9
	s_delay_alu instid0(VALU_DEP_2)
	v_lshl_add_u64 v[2:3], v[2:3], 2, s[14:15]
	s_branch .LBB26_13
.LBB26_12:                              ;   in Loop: Header=BB26_13 Depth=1
	s_or_b32 exec_lo, exec_lo, s14
	s_add_nc_u64 s[20:21], s[20:21], 64
	v_add_nc_u64_e32 v[2:3], 0x100, v[2:3]
	v_cmp_ge_i64_e64 s14, s[20:21], s[4:5]
	s_and_b32 vcc_lo, exec_lo, s14
	s_cbranch_vccnz .LBB26_30
.LBB26_13:                              ; =>This Loop Header: Depth=1
                                        ;     Child Loop BB26_15 Depth 2
                                        ;     Child Loop BB26_29 Depth 2
	v_mov_b32_e32 v4, 0
	s_and_saveexec_b32 s17, s0
	s_cbranch_execz .LBB26_17
; %bb.14:                               ;   in Loop: Header=BB26_13 Depth=1
	v_dual_mov_b32 v4, 0 :: v_dual_mov_b32 v5, v13
	v_dual_mov_b32 v6, v9 :: v_dual_mov_b32 v7, v0
	s_lshl_b64 s[14:15], s[20:21], 2
	s_mov_b32 s19, 0
	s_add_nc_u64 s[14:15], s[8:9], s[14:15]
.LBB26_15:                              ;   Parent Loop BB26_13 Depth=1
                                        ; =>  This Inner Loop Header: Depth=2
	global_load_b32 v15, v5, s[14:15] scale_offset
	ds_load_b32 v16, v6
	v_add_nc_u32_e32 v7, 0x80, v7
	v_add_nc_u32_e32 v6, 0x200, v6
	s_wait_xcnt 0x0
	v_add_nc_u32_e32 v5, s16, v5
	s_delay_alu instid0(VALU_DEP_3)
	v_cmp_le_i32_e32 vcc_lo, s6, v7
	s_or_b32 s19, vcc_lo, s19
	s_wait_loadcnt_dscnt 0x0
	v_fmac_f32_e32 v4, v16, v15
	s_and_not1_b32 exec_lo, exec_lo, s19
	s_cbranch_execnz .LBB26_15
; %bb.16:                               ;   in Loop: Header=BB26_13 Depth=1
	s_or_b32 exec_lo, exec_lo, s19
.LBB26_17:                              ;   in Loop: Header=BB26_13 Depth=1
	s_delay_alu instid0(SALU_CYCLE_1) | instskip(NEXT) | instid1(SALU_CYCLE_1)
	s_or_b32 exec_lo, exec_lo, s17
	s_and_b32 vcc_lo, exec_lo, s18
	s_cbranch_vccz .LBB26_24
; %bb.18:                               ;   in Loop: Header=BB26_13 Depth=1
	v_cmp_ne_u32_e32 vcc_lo, 31, v10
	v_add_co_ci_u32_e64 v5, null, 0, v10, vcc_lo
	v_cmp_gt_u32_e32 vcc_lo, 30, v10
	s_delay_alu instid0(VALU_DEP_2)
	v_lshlrev_b32_e32 v5, 2, v5
	v_cndmask_b32_e64 v6, 0, 2, vcc_lo
	v_cmp_gt_u32_e32 vcc_lo, 28, v10
	ds_bpermute_b32 v5, v5, v4
	v_add_lshl_u32 v6, v6, v10, 2
	v_cndmask_b32_e64 v7, 0, 4, vcc_lo
	v_cmp_gt_u32_e32 vcc_lo, 24, v10
	s_delay_alu instid0(VALU_DEP_2)
	v_add_lshl_u32 v7, v7, v10, 2
	s_wait_dscnt 0x0
	v_add_f32_e32 v5, v4, v5
	ds_bpermute_b32 v6, v6, v5
	s_wait_dscnt 0x0
	v_add_f32_e32 v5, v5, v6
	ds_bpermute_b32 v6, v7, v5
	v_cndmask_b32_e64 v7, 0, 8, vcc_lo
	s_wait_dscnt 0x0
	v_add_f32_e32 v5, v5, v6
	s_delay_alu instid0(VALU_DEP_2)
	v_add_lshl_u32 v6, v7, v10, 2
	ds_bpermute_b32 v6, v6, v5
	s_wait_dscnt 0x0
	v_add_f32_e32 v5, v5, v6
	ds_bpermute_b32 v6, v12, v5
	s_wait_dscnt 0x0
	v_add_f32_e32 v6, v5, v6
	s_and_saveexec_b32 s14, s3
; %bb.19:                               ;   in Loop: Header=BB26_13 Depth=1
	ds_store_b32 v8, v6 offset:8192
; %bb.20:                               ;   in Loop: Header=BB26_13 Depth=1
	s_or_b32 exec_lo, exec_lo, s14
	s_mov_b32 s15, 0
	s_mov_b32 s14, 0
	s_wait_dscnt 0x0
	s_barrier_signal -1
	s_barrier_wait -1
                                        ; implicit-def: $vgpr5
	s_and_saveexec_b32 s17, s1
	s_delay_alu instid0(SALU_CYCLE_1)
	s_xor_b32 s17, exec_lo, s17
	s_cbranch_execz .LBB26_22
; %bb.21:                               ;   in Loop: Header=BB26_13 Depth=1
	ds_load_2addr_b32 v[16:17], v11 offset1:1
	ds_load_b32 v5, v14 offset:8204
	s_mov_b32 s14, exec_lo
	s_wait_dscnt 0x1
	v_add_f32_e32 v6, v6, v16
	s_delay_alu instid0(VALU_DEP_1) | instskip(SKIP_1) | instid1(VALU_DEP_1)
	v_add_f32_e32 v6, v6, v17
	s_wait_dscnt 0x0
	v_add_f32_e32 v5, v6, v5
.LBB26_22:                              ;   in Loop: Header=BB26_13 Depth=1
	s_or_b32 exec_lo, exec_lo, s17
	s_delay_alu instid0(SALU_CYCLE_1)
	s_and_b32 vcc_lo, exec_lo, s15
	s_cbranch_vccnz .LBB26_25
.LBB26_23:                              ;   in Loop: Header=BB26_13 Depth=1
	s_delay_alu instid0(VALU_DEP_1)
	v_mov_b32_e32 v4, v5
	s_and_saveexec_b32 s15, s14
	s_cbranch_execnz .LBB26_26
	s_branch .LBB26_27
.LBB26_24:                              ;   in Loop: Header=BB26_13 Depth=1
	s_mov_b32 s14, 0
                                        ; implicit-def: $vgpr5
	s_cbranch_execz .LBB26_23
.LBB26_25:                              ;   in Loop: Header=BB26_13 Depth=1
	s_and_not1_b32 s14, s14, exec_lo
	s_and_b32 s15, s1, exec_lo
	s_delay_alu instid0(SALU_CYCLE_1) | instskip(NEXT) | instid1(SALU_CYCLE_1)
	s_or_b32 s14, s14, s15
	s_and_saveexec_b32 s15, s14
.LBB26_26:                              ;   in Loop: Header=BB26_13 Depth=1
	ds_store_b32 v14, v4 offset:8192
.LBB26_27:                              ;   in Loop: Header=BB26_13 Depth=1
	s_or_b32 exec_lo, exec_lo, s15
	s_wait_dscnt 0x0
	s_barrier_signal -1
	s_barrier_wait -1
	s_and_saveexec_b32 s14, s2
	s_cbranch_execz .LBB26_12
; %bb.28:                               ;   in Loop: Header=BB26_13 Depth=1
	global_load_b32 v4, v14, s[10:11]
	ds_load_b32 v6, v14 offset:8192
	s_mov_b32 s15, 0
	s_wait_loadcnt 0x0
	v_xor_b32_e32 v7, 0x80000000, v4
	v_mov_b32_e32 v15, v9
	v_mov_b64_e32 v[4:5], v[2:3]
	s_wait_dscnt 0x0
	s_delay_alu instid0(VALU_DEP_3)
	v_mul_f32_e32 v16, v6, v7
	v_mov_b64_e32 v[6:7], v[0:1]
.LBB26_29:                              ;   Parent Loop BB26_13 Depth=1
                                        ; =>  This Inner Loop Header: Depth=2
	global_load_b32 v17, v[4:5], off
	ds_load_b32 v18, v15
	v_add_nc_u64_e32 v[6:7], 0x80, v[6:7]
	v_add_nc_u32_e32 v15, 0x200, v15
	s_delay_alu instid0(VALU_DEP_2)
	v_cmp_le_i64_e32 vcc_lo, s[6:7], v[6:7]
	s_or_b32 s15, vcc_lo, s15
	s_wait_loadcnt_dscnt 0x0
	v_fmac_f32_e32 v17, v16, v18
	global_store_b32 v[4:5], v17, off
	s_wait_xcnt 0x0
	v_add_nc_u64_e32 v[4:5], s[12:13], v[4:5]
	s_and_not1_b32 exec_lo, exec_lo, s15
	s_cbranch_execnz .LBB26_29
	s_branch .LBB26_12
.LBB26_30:
	s_endpgm
	.section	.rodata,"a",@progbits
	.p2align	6, 0x0
	.amdhsa_kernel _ZN9rocsolver6v33100L23larf_right_kernel_smallILi128EflPfEEvT1_S3_T2_lS3_lPKT0_lS4_lS3_l
		.amdhsa_group_segment_fixed_size 8208
		.amdhsa_private_segment_fixed_size 0
		.amdhsa_kernarg_size 96
		.amdhsa_user_sgpr_count 2
		.amdhsa_user_sgpr_dispatch_ptr 0
		.amdhsa_user_sgpr_queue_ptr 0
		.amdhsa_user_sgpr_kernarg_segment_ptr 1
		.amdhsa_user_sgpr_dispatch_id 0
		.amdhsa_user_sgpr_kernarg_preload_length 0
		.amdhsa_user_sgpr_kernarg_preload_offset 0
		.amdhsa_user_sgpr_private_segment_size 0
		.amdhsa_wavefront_size32 1
		.amdhsa_uses_dynamic_stack 0
		.amdhsa_enable_private_segment 0
		.amdhsa_system_sgpr_workgroup_id_x 1
		.amdhsa_system_sgpr_workgroup_id_y 1
		.amdhsa_system_sgpr_workgroup_id_z 0
		.amdhsa_system_sgpr_workgroup_info 0
		.amdhsa_system_vgpr_workitem_id 0
		.amdhsa_next_free_vgpr 19
		.amdhsa_next_free_sgpr 36
		.amdhsa_named_barrier_count 0
		.amdhsa_reserve_vcc 1
		.amdhsa_float_round_mode_32 0
		.amdhsa_float_round_mode_16_64 0
		.amdhsa_float_denorm_mode_32 3
		.amdhsa_float_denorm_mode_16_64 3
		.amdhsa_fp16_overflow 0
		.amdhsa_memory_ordered 1
		.amdhsa_forward_progress 1
		.amdhsa_inst_pref_size 12
		.amdhsa_round_robin_scheduling 0
		.amdhsa_exception_fp_ieee_invalid_op 0
		.amdhsa_exception_fp_denorm_src 0
		.amdhsa_exception_fp_ieee_div_zero 0
		.amdhsa_exception_fp_ieee_overflow 0
		.amdhsa_exception_fp_ieee_underflow 0
		.amdhsa_exception_fp_ieee_inexact 0
		.amdhsa_exception_int_div_zero 0
	.end_amdhsa_kernel
	.section	.text._ZN9rocsolver6v33100L23larf_right_kernel_smallILi128EflPfEEvT1_S3_T2_lS3_lPKT0_lS4_lS3_l,"axG",@progbits,_ZN9rocsolver6v33100L23larf_right_kernel_smallILi128EflPfEEvT1_S3_T2_lS3_lPKT0_lS4_lS3_l,comdat
.Lfunc_end26:
	.size	_ZN9rocsolver6v33100L23larf_right_kernel_smallILi128EflPfEEvT1_S3_T2_lS3_lPKT0_lS4_lS3_l, .Lfunc_end26-_ZN9rocsolver6v33100L23larf_right_kernel_smallILi128EflPfEEvT1_S3_T2_lS3_lPKT0_lS4_lS3_l
                                        ; -- End function
	.set _ZN9rocsolver6v33100L23larf_right_kernel_smallILi128EflPfEEvT1_S3_T2_lS3_lPKT0_lS4_lS3_l.num_vgpr, 19
	.set _ZN9rocsolver6v33100L23larf_right_kernel_smallILi128EflPfEEvT1_S3_T2_lS3_lPKT0_lS4_lS3_l.num_agpr, 0
	.set _ZN9rocsolver6v33100L23larf_right_kernel_smallILi128EflPfEEvT1_S3_T2_lS3_lPKT0_lS4_lS3_l.numbered_sgpr, 36
	.set _ZN9rocsolver6v33100L23larf_right_kernel_smallILi128EflPfEEvT1_S3_T2_lS3_lPKT0_lS4_lS3_l.num_named_barrier, 0
	.set _ZN9rocsolver6v33100L23larf_right_kernel_smallILi128EflPfEEvT1_S3_T2_lS3_lPKT0_lS4_lS3_l.private_seg_size, 0
	.set _ZN9rocsolver6v33100L23larf_right_kernel_smallILi128EflPfEEvT1_S3_T2_lS3_lPKT0_lS4_lS3_l.uses_vcc, 1
	.set _ZN9rocsolver6v33100L23larf_right_kernel_smallILi128EflPfEEvT1_S3_T2_lS3_lPKT0_lS4_lS3_l.uses_flat_scratch, 0
	.set _ZN9rocsolver6v33100L23larf_right_kernel_smallILi128EflPfEEvT1_S3_T2_lS3_lPKT0_lS4_lS3_l.has_dyn_sized_stack, 0
	.set _ZN9rocsolver6v33100L23larf_right_kernel_smallILi128EflPfEEvT1_S3_T2_lS3_lPKT0_lS4_lS3_l.has_recursion, 0
	.set _ZN9rocsolver6v33100L23larf_right_kernel_smallILi128EflPfEEvT1_S3_T2_lS3_lPKT0_lS4_lS3_l.has_indirect_call, 0
	.section	.AMDGPU.csdata,"",@progbits
; Kernel info:
; codeLenInByte = 1468
; TotalNumSgprs: 38
; NumVgprs: 19
; ScratchSize: 0
; MemoryBound: 0
; FloatMode: 240
; IeeeMode: 1
; LDSByteSize: 8208 bytes/workgroup (compile time only)
; SGPRBlocks: 0
; VGPRBlocks: 1
; NumSGPRsForWavesPerEU: 38
; NumVGPRsForWavesPerEU: 19
; NamedBarCnt: 0
; Occupancy: 16
; WaveLimiterHint : 0
; COMPUTE_PGM_RSRC2:SCRATCH_EN: 0
; COMPUTE_PGM_RSRC2:USER_SGPR: 2
; COMPUTE_PGM_RSRC2:TRAP_HANDLER: 0
; COMPUTE_PGM_RSRC2:TGID_X_EN: 1
; COMPUTE_PGM_RSRC2:TGID_Y_EN: 1
; COMPUTE_PGM_RSRC2:TGID_Z_EN: 0
; COMPUTE_PGM_RSRC2:TIDIG_COMP_CNT: 0
	.section	.text._ZN9rocsolver6v33100L23larf_right_kernel_smallILi256EflPfEEvT1_S3_T2_lS3_lPKT0_lS4_lS3_l,"axG",@progbits,_ZN9rocsolver6v33100L23larf_right_kernel_smallILi256EflPfEEvT1_S3_T2_lS3_lPKT0_lS4_lS3_l,comdat
	.globl	_ZN9rocsolver6v33100L23larf_right_kernel_smallILi256EflPfEEvT1_S3_T2_lS3_lPKT0_lS4_lS3_l ; -- Begin function _ZN9rocsolver6v33100L23larf_right_kernel_smallILi256EflPfEEvT1_S3_T2_lS3_lPKT0_lS4_lS3_l
	.p2align	8
	.type	_ZN9rocsolver6v33100L23larf_right_kernel_smallILi256EflPfEEvT1_S3_T2_lS3_lPKT0_lS4_lS3_l,@function
_ZN9rocsolver6v33100L23larf_right_kernel_smallILi256EflPfEEvT1_S3_T2_lS3_lPKT0_lS4_lS3_l: ; @_ZN9rocsolver6v33100L23larf_right_kernel_smallILi256EflPfEEvT1_S3_T2_lS3_lPKT0_lS4_lS3_l
; %bb.0:
	s_load_b512 s[4:19], s[0:1], 0x0
	s_mov_b64 s[24:25], 0
	s_wait_kmcnt 0x0
	v_cmp_gt_i64_e64 s2, s[12:13], 0
	s_and_b32 vcc_lo, exec_lo, s2
	s_cbranch_vccnz .LBB27_2
; %bb.1:
	s_sub_nc_u64 s[2:3], 1, s[6:7]
	s_delay_alu instid0(SALU_CYCLE_1)
	s_mul_u64 s[24:25], s[12:13], s[2:3]
.LBB27_2:
	v_mov_b32_e32 v1, 0
	s_bfe_u32 s2, ttmp6, 0x4000c
	s_and_b32 s20, ttmp6, 15
	s_add_co_i32 s2, s2, 1
	s_getreg_b32 s3, hwreg(HW_REG_IB_STS2, 6, 4)
	s_mul_i32 s21, ttmp9, s2
	v_cmp_gt_i64_e64 s2, s[6:7], v[0:1]
	s_add_co_i32 s20, s20, s21
	s_cmp_eq_u32 s3, 0
	s_mov_b32 s21, 0
	s_cselect_b32 s22, ttmp9, s20
	s_mov_b32 s23, s21
	s_and_saveexec_b32 s20, s2
	s_cbranch_execz .LBB27_10
; %bb.3:
	v_mov_b32_e32 v3, -1
	v_not_b32_e32 v2, v0
	v_mov_b64_e32 v[4:5], v[0:1]
	s_mul_u64 s[14:15], s[14:15], s[22:23]
	s_mov_b32 s26, -1
	s_mov_b32 s30, exec_lo
	v_add_nc_u64_e32 v[2:3], s[6:7], v[2:3]
	s_delay_alu instid0(VALU_DEP_1)
	v_cmpx_lt_u64_e32 0xff, v[2:3]
	s_cbranch_execz .LBB27_7
; %bb.4:
	v_lshrrev_b64 v[2:3], 8, v[2:3]
	s_lshl_b64 s[26:27], s[14:15], 2
	s_lshl_b64 s[28:29], s[10:11], 2
	s_add_nc_u64 s[26:27], s[8:9], s[26:27]
	v_or_b32_e32 v8, 0x100, v0
	s_lshl_b64 s[34:35], s[24:25], 2
	s_add_nc_u64 s[26:27], s[26:27], s[28:29]
	v_add_nc_u64_e32 v[2:3], 1, v[2:3]
	v_mov_b32_e32 v5, 0
	s_add_nc_u64 s[26:27], s[26:27], s[34:35]
	s_mov_b32 s28, s12
	s_mov_b32 s29, s13
	;; [unrolled: 1-line block ×3, first 2 shown]
	s_delay_alu instid0(VALU_DEP_2) | instskip(SKIP_1) | instid1(VALU_DEP_1)
	v_dual_mov_b32 v4, v0 :: v_dual_mov_b32 v7, v3
	v_dual_mov_b32 v9, v5 :: v_dual_bitop2_b32 v6, -2, v2 bitop3:0x40
	v_mov_b64_e32 v[10:11], v[6:7]
.LBB27_5:                               ; =>This Inner Loop Header: Depth=1
	s_delay_alu instid0(VALU_DEP_3) | instskip(NEXT) | instid1(VALU_DEP_3)
	v_mul_u64_e32 v[12:13], s[12:13], v[4:5]
	v_mul_u64_e32 v[14:15], s[28:29], v[8:9]
	s_delay_alu instid0(VALU_DEP_3) | instskip(NEXT) | instid1(VALU_DEP_1)
	v_add_nc_u64_e32 v[10:11], -2, v[10:11]
	v_cmp_eq_u64_e32 vcc_lo, 0, v[10:11]
	s_or_b32 s31, vcc_lo, s31
	s_delay_alu instid0(VALU_DEP_4) | instskip(NEXT) | instid1(VALU_DEP_4)
	v_lshl_add_u64 v[12:13], v[12:13], 2, s[26:27]
	v_lshl_add_u64 v[14:15], v[14:15], 2, s[26:27]
	s_clause 0x1
	global_load_b32 v16, v[12:13], off
	global_load_b32 v17, v[14:15], off
	s_wait_xcnt 0x1
	v_lshlrev_b32_e32 v12, 2, v4
	v_lshlrev_b32_e32 v13, 2, v8
	v_add_nc_u64_e32 v[8:9], 0x200, v[8:9]
	v_add_nc_u64_e32 v[4:5], 0x200, v[4:5]
	s_wait_loadcnt 0x1
	ds_store_b32 v12, v16
	s_wait_loadcnt 0x0
	ds_store_b32 v13, v17
	s_wait_xcnt 0x0
	s_and_not1_b32 exec_lo, exec_lo, s31
	s_cbranch_execnz .LBB27_5
; %bb.6:
	s_or_b32 exec_lo, exec_lo, s31
	v_lshlrev_b64_e32 v[4:5], 8, v[6:7]
	v_cmp_ne_u64_e32 vcc_lo, v[2:3], v[6:7]
	s_delay_alu instid0(VALU_DEP_2)
	v_or_b32_e32 v4, v4, v0
	s_or_not1_b32 s26, vcc_lo, exec_lo
.LBB27_7:
	s_or_b32 exec_lo, exec_lo, s30
	s_delay_alu instid0(SALU_CYCLE_1)
	s_and_b32 exec_lo, exec_lo, s26
	s_cbranch_execz .LBB27_10
; %bb.8:
	v_mul_u64_e32 v[2:3], s[12:13], v[4:5]
	s_lshl_b64 s[10:11], s[10:11], 2
	s_lshl_b64 s[24:25], s[24:25], 2
	s_add_nc_u64 s[8:9], s[8:9], s[10:11]
	s_lshl_b64 s[10:11], s[14:15], 2
	s_add_nc_u64 s[8:9], s[8:9], s[24:25]
	v_lshlrev_b32_e32 v6, 2, v4
	s_add_nc_u64 s[8:9], s[8:9], s[10:11]
	s_mov_b32 s10, 0
	s_delay_alu instid0(VALU_DEP_2)
	v_lshl_add_u64 v[2:3], v[2:3], 2, s[8:9]
	s_lshl_b64 s[8:9], s[12:13], 10
.LBB27_9:                               ; =>This Inner Loop Header: Depth=1
	global_load_b32 v7, v[2:3], off
	v_add_nc_u64_e32 v[4:5], 0x100, v[4:5]
	s_wait_xcnt 0x0
	v_add_nc_u64_e32 v[2:3], s[8:9], v[2:3]
	s_delay_alu instid0(VALU_DEP_2)
	v_cmp_le_i64_e32 vcc_lo, s[6:7], v[4:5]
	s_or_b32 s10, vcc_lo, s10
	s_wait_loadcnt 0x0
	ds_store_b32 v6, v7
	v_add_nc_u32_e32 v6, 0x400, v6
	s_and_not1_b32 exec_lo, exec_lo, s10
	s_cbranch_execnz .LBB27_9
.LBB27_10:
	s_or_b32 exec_lo, exec_lo, s20
	s_bfe_u32 s8, ttmp6, 0x40010
	s_bfe_u32 s9, ttmp6, 0x40004
	s_add_co_i32 s8, s8, 1
	s_wait_dscnt 0x0
	s_mul_i32 s8, ttmp7, s8
	s_barrier_signal -1
	s_add_co_i32 s9, s9, s8
	s_cmp_eq_u32 s3, 0
	s_barrier_wait -1
	s_cselect_b32 s20, ttmp7, s9
	s_delay_alu instid0(SALU_CYCLE_1)
	v_cmp_le_i64_e64 s3, s[4:5], s[20:21]
	s_and_b32 vcc_lo, exec_lo, s3
	s_cbranch_vccnz .LBB27_30
; %bb.11:
	s_load_b256 s[8:15], s[0:1], 0x40
	s_mul_u64 s[18:19], s[18:19], s[22:23]
	v_dual_lshrrev_b32 v8, 3, v0 :: v_dual_bitop2_b32 v4, 31, v0 bitop3:0x40
	s_lshl_b64 s[24:25], s[18:19], 2
	v_mbcnt_lo_u32_b32 v10, -1, 0
	s_wait_xcnt 0x0
	v_cmp_gt_i32_e64 s0, s6, v0
	v_cmp_eq_u32_e64 s1, 0, v0
	v_dual_mov_b32 v12, 0x200c :: v_dual_lshlrev_b32 v9, 2, v0
	v_dual_mov_b32 v11, 0x2004 :: v_dual_mov_b32 v16, 0
	v_mov_b32_e32 v13, 0x2014
	v_cmp_eq_u32_e64 s3, 0, v4
	v_lshl_or_b32 v14, v10, 2, 64
	s_wait_kmcnt 0x0
	v_mul_u64_e32 v[2:3], s[12:13], v[0:1]
	s_mul_u64 s[14:15], s[14:15], s[22:23]
	s_lshl_b64 s[10:11], s[10:11], 2
	s_lshl_b64 s[14:15], s[14:15], 2
	s_cmp_gt_i32 s6, 1
	v_mul_lo_u32 v15, v0, s12
	s_cselect_b32 s18, -1, 0
	s_lshl_b64 s[22:23], s[20:21], 2
	s_delay_alu instid0(SALU_CYCLE_1)
	s_add_nc_u64 s[22:23], s[8:9], s[22:23]
	s_add_nc_u64 s[8:9], s[8:9], s[14:15]
	s_add_nc_u64 s[22:23], s[22:23], s[10:11]
	s_add_nc_u64 s[8:9], s[8:9], s[10:11]
	s_add_nc_u64 s[14:15], s[22:23], s[14:15]
	s_add_nc_u64 s[10:11], s[16:17], s[24:25]
	s_lshl_b32 s16, s12, 8
	s_lshl_b64 s[12:13], s[12:13], 10
	s_delay_alu instid0(VALU_DEP_2)
	v_lshl_add_u64 v[2:3], v[2:3], 2, s[14:15]
	s_branch .LBB27_13
.LBB27_12:                              ;   in Loop: Header=BB27_13 Depth=1
	s_or_b32 exec_lo, exec_lo, s14
	s_add_nc_u64 s[20:21], s[20:21], 64
	v_add_nc_u64_e32 v[2:3], 0x100, v[2:3]
	v_cmp_ge_i64_e64 s14, s[20:21], s[4:5]
	s_and_b32 vcc_lo, exec_lo, s14
	s_cbranch_vccnz .LBB27_30
.LBB27_13:                              ; =>This Loop Header: Depth=1
                                        ;     Child Loop BB27_15 Depth 2
                                        ;     Child Loop BB27_29 Depth 2
	v_mov_b32_e32 v4, 0
	s_and_saveexec_b32 s17, s0
	s_cbranch_execz .LBB27_17
; %bb.14:                               ;   in Loop: Header=BB27_13 Depth=1
	v_dual_mov_b32 v4, 0 :: v_dual_mov_b32 v5, v15
	v_dual_mov_b32 v6, v9 :: v_dual_mov_b32 v7, v0
	s_lshl_b64 s[14:15], s[20:21], 2
	s_mov_b32 s19, 0
	s_add_nc_u64 s[14:15], s[8:9], s[14:15]
.LBB27_15:                              ;   Parent Loop BB27_13 Depth=1
                                        ; =>  This Inner Loop Header: Depth=2
	global_load_b32 v17, v5, s[14:15] scale_offset
	ds_load_b32 v18, v6
	v_add_nc_u32_e32 v7, 0x100, v7
	v_add_nc_u32_e32 v6, 0x400, v6
	s_wait_xcnt 0x0
	v_add_nc_u32_e32 v5, s16, v5
	s_wait_loadcnt_dscnt 0x0
	v_fmac_f32_e32 v4, v18, v17
	v_cmp_le_i32_e32 vcc_lo, s6, v7
	s_or_b32 s19, vcc_lo, s19
	s_delay_alu instid0(SALU_CYCLE_1)
	s_and_not1_b32 exec_lo, exec_lo, s19
	s_cbranch_execnz .LBB27_15
; %bb.16:                               ;   in Loop: Header=BB27_13 Depth=1
	s_or_b32 exec_lo, exec_lo, s19
.LBB27_17:                              ;   in Loop: Header=BB27_13 Depth=1
	s_delay_alu instid0(SALU_CYCLE_1) | instskip(NEXT) | instid1(SALU_CYCLE_1)
	s_or_b32 exec_lo, exec_lo, s17
	s_and_b32 vcc_lo, exec_lo, s18
	s_cbranch_vccz .LBB27_24
; %bb.18:                               ;   in Loop: Header=BB27_13 Depth=1
	v_cmp_ne_u32_e32 vcc_lo, 31, v10
	v_add_co_ci_u32_e64 v5, null, 0, v10, vcc_lo
	v_cmp_gt_u32_e32 vcc_lo, 30, v10
	s_delay_alu instid0(VALU_DEP_2)
	v_lshlrev_b32_e32 v5, 2, v5
	v_cndmask_b32_e64 v6, 0, 2, vcc_lo
	v_cmp_gt_u32_e32 vcc_lo, 28, v10
	ds_bpermute_b32 v5, v5, v4
	v_add_lshl_u32 v6, v6, v10, 2
	v_cndmask_b32_e64 v7, 0, 4, vcc_lo
	v_cmp_gt_u32_e32 vcc_lo, 24, v10
	s_delay_alu instid0(VALU_DEP_2)
	v_add_lshl_u32 v7, v7, v10, 2
	s_wait_dscnt 0x0
	v_add_f32_e32 v5, v4, v5
	ds_bpermute_b32 v6, v6, v5
	s_wait_dscnt 0x0
	v_add_f32_e32 v5, v5, v6
	ds_bpermute_b32 v6, v7, v5
	v_cndmask_b32_e64 v7, 0, 8, vcc_lo
	s_wait_dscnt 0x0
	v_add_f32_e32 v5, v5, v6
	s_delay_alu instid0(VALU_DEP_2)
	v_add_lshl_u32 v6, v7, v10, 2
	ds_bpermute_b32 v6, v6, v5
	s_wait_dscnt 0x0
	v_add_f32_e32 v5, v5, v6
	ds_bpermute_b32 v6, v14, v5
	s_wait_dscnt 0x0
	v_add_f32_e32 v5, v5, v6
	s_and_saveexec_b32 s14, s3
; %bb.19:                               ;   in Loop: Header=BB27_13 Depth=1
	ds_store_b32 v8, v5 offset:8192
; %bb.20:                               ;   in Loop: Header=BB27_13 Depth=1
	s_or_b32 exec_lo, exec_lo, s14
	s_mov_b32 s15, 0
	s_mov_b32 s14, 0
	s_wait_dscnt 0x0
	s_barrier_signal -1
	s_barrier_wait -1
                                        ; implicit-def: $vgpr6
	s_and_saveexec_b32 s17, s1
	s_delay_alu instid0(SALU_CYCLE_1)
	s_xor_b32 s17, exec_lo, s17
	s_cbranch_execz .LBB27_22
; %bb.21:                               ;   in Loop: Header=BB27_13 Depth=1
	ds_load_2addr_b32 v[6:7], v11 offset1:1
	ds_load_2addr_b32 v[18:19], v12 offset1:1
	;; [unrolled: 1-line block ×3, first 2 shown]
	ds_load_b32 v17, v16 offset:8220
	s_mov_b32 s14, exec_lo
	s_wait_dscnt 0x3
	v_add_f32_e32 v5, v5, v6
	s_delay_alu instid0(VALU_DEP_1) | instskip(SKIP_1) | instid1(VALU_DEP_1)
	v_add_f32_e32 v5, v5, v7
	s_wait_dscnt 0x2
	v_add_f32_e32 v5, v5, v18
	s_delay_alu instid0(VALU_DEP_1) | instskip(SKIP_1) | instid1(VALU_DEP_1)
	v_add_f32_e32 v5, v5, v19
	;; [unrolled: 4-line block ×3, first 2 shown]
	s_wait_dscnt 0x0
	v_add_f32_e32 v6, v5, v17
.LBB27_22:                              ;   in Loop: Header=BB27_13 Depth=1
	s_or_b32 exec_lo, exec_lo, s17
	s_delay_alu instid0(SALU_CYCLE_1)
	s_and_b32 vcc_lo, exec_lo, s15
	s_cbranch_vccnz .LBB27_25
.LBB27_23:                              ;   in Loop: Header=BB27_13 Depth=1
	s_delay_alu instid0(VALU_DEP_1)
	v_mov_b32_e32 v4, v6
	s_and_saveexec_b32 s15, s14
	s_cbranch_execnz .LBB27_26
	s_branch .LBB27_27
.LBB27_24:                              ;   in Loop: Header=BB27_13 Depth=1
	s_mov_b32 s14, 0
                                        ; implicit-def: $vgpr6
	s_cbranch_execz .LBB27_23
.LBB27_25:                              ;   in Loop: Header=BB27_13 Depth=1
	s_and_not1_b32 s14, s14, exec_lo
	s_and_b32 s15, s1, exec_lo
	s_delay_alu instid0(SALU_CYCLE_1) | instskip(NEXT) | instid1(SALU_CYCLE_1)
	s_or_b32 s14, s14, s15
	s_and_saveexec_b32 s15, s14
.LBB27_26:                              ;   in Loop: Header=BB27_13 Depth=1
	ds_store_b32 v16, v4 offset:8192
.LBB27_27:                              ;   in Loop: Header=BB27_13 Depth=1
	s_or_b32 exec_lo, exec_lo, s15
	s_wait_dscnt 0x0
	s_barrier_signal -1
	s_barrier_wait -1
	s_and_saveexec_b32 s14, s2
	s_cbranch_execz .LBB27_12
; %bb.28:                               ;   in Loop: Header=BB27_13 Depth=1
	global_load_b32 v4, v16, s[10:11]
	ds_load_b32 v6, v16 offset:8192
	s_mov_b32 s15, 0
	s_wait_loadcnt 0x0
	v_xor_b32_e32 v7, 0x80000000, v4
	v_mov_b32_e32 v17, v9
	v_mov_b64_e32 v[4:5], v[2:3]
	s_wait_dscnt 0x0
	s_delay_alu instid0(VALU_DEP_3)
	v_mul_f32_e32 v18, v6, v7
	v_mov_b64_e32 v[6:7], v[0:1]
.LBB27_29:                              ;   Parent Loop BB27_13 Depth=1
                                        ; =>  This Inner Loop Header: Depth=2
	global_load_b32 v19, v[4:5], off
	ds_load_b32 v20, v17
	v_add_nc_u64_e32 v[6:7], 0x100, v[6:7]
	v_add_nc_u32_e32 v17, 0x400, v17
	s_delay_alu instid0(VALU_DEP_2)
	v_cmp_le_i64_e32 vcc_lo, s[6:7], v[6:7]
	s_or_b32 s15, vcc_lo, s15
	s_wait_loadcnt_dscnt 0x0
	v_fmac_f32_e32 v19, v18, v20
	global_store_b32 v[4:5], v19, off
	s_wait_xcnt 0x0
	v_add_nc_u64_e32 v[4:5], s[12:13], v[4:5]
	s_and_not1_b32 exec_lo, exec_lo, s15
	s_cbranch_execnz .LBB27_29
	s_branch .LBB27_12
.LBB27_30:
	s_endpgm
	.section	.rodata,"a",@progbits
	.p2align	6, 0x0
	.amdhsa_kernel _ZN9rocsolver6v33100L23larf_right_kernel_smallILi256EflPfEEvT1_S3_T2_lS3_lPKT0_lS4_lS3_l
		.amdhsa_group_segment_fixed_size 8224
		.amdhsa_private_segment_fixed_size 0
		.amdhsa_kernarg_size 96
		.amdhsa_user_sgpr_count 2
		.amdhsa_user_sgpr_dispatch_ptr 0
		.amdhsa_user_sgpr_queue_ptr 0
		.amdhsa_user_sgpr_kernarg_segment_ptr 1
		.amdhsa_user_sgpr_dispatch_id 0
		.amdhsa_user_sgpr_kernarg_preload_length 0
		.amdhsa_user_sgpr_kernarg_preload_offset 0
		.amdhsa_user_sgpr_private_segment_size 0
		.amdhsa_wavefront_size32 1
		.amdhsa_uses_dynamic_stack 0
		.amdhsa_enable_private_segment 0
		.amdhsa_system_sgpr_workgroup_id_x 1
		.amdhsa_system_sgpr_workgroup_id_y 1
		.amdhsa_system_sgpr_workgroup_id_z 0
		.amdhsa_system_sgpr_workgroup_info 0
		.amdhsa_system_vgpr_workitem_id 0
		.amdhsa_next_free_vgpr 22
		.amdhsa_next_free_sgpr 36
		.amdhsa_named_barrier_count 0
		.amdhsa_reserve_vcc 1
		.amdhsa_float_round_mode_32 0
		.amdhsa_float_round_mode_16_64 0
		.amdhsa_float_denorm_mode_32 3
		.amdhsa_float_denorm_mode_16_64 3
		.amdhsa_fp16_overflow 0
		.amdhsa_memory_ordered 1
		.amdhsa_forward_progress 1
		.amdhsa_inst_pref_size 12
		.amdhsa_round_robin_scheduling 0
		.amdhsa_exception_fp_ieee_invalid_op 0
		.amdhsa_exception_fp_denorm_src 0
		.amdhsa_exception_fp_ieee_div_zero 0
		.amdhsa_exception_fp_ieee_overflow 0
		.amdhsa_exception_fp_ieee_underflow 0
		.amdhsa_exception_fp_ieee_inexact 0
		.amdhsa_exception_int_div_zero 0
	.end_amdhsa_kernel
	.section	.text._ZN9rocsolver6v33100L23larf_right_kernel_smallILi256EflPfEEvT1_S3_T2_lS3_lPKT0_lS4_lS3_l,"axG",@progbits,_ZN9rocsolver6v33100L23larf_right_kernel_smallILi256EflPfEEvT1_S3_T2_lS3_lPKT0_lS4_lS3_l,comdat
.Lfunc_end27:
	.size	_ZN9rocsolver6v33100L23larf_right_kernel_smallILi256EflPfEEvT1_S3_T2_lS3_lPKT0_lS4_lS3_l, .Lfunc_end27-_ZN9rocsolver6v33100L23larf_right_kernel_smallILi256EflPfEEvT1_S3_T2_lS3_lPKT0_lS4_lS3_l
                                        ; -- End function
	.set _ZN9rocsolver6v33100L23larf_right_kernel_smallILi256EflPfEEvT1_S3_T2_lS3_lPKT0_lS4_lS3_l.num_vgpr, 22
	.set _ZN9rocsolver6v33100L23larf_right_kernel_smallILi256EflPfEEvT1_S3_T2_lS3_lPKT0_lS4_lS3_l.num_agpr, 0
	.set _ZN9rocsolver6v33100L23larf_right_kernel_smallILi256EflPfEEvT1_S3_T2_lS3_lPKT0_lS4_lS3_l.numbered_sgpr, 36
	.set _ZN9rocsolver6v33100L23larf_right_kernel_smallILi256EflPfEEvT1_S3_T2_lS3_lPKT0_lS4_lS3_l.num_named_barrier, 0
	.set _ZN9rocsolver6v33100L23larf_right_kernel_smallILi256EflPfEEvT1_S3_T2_lS3_lPKT0_lS4_lS3_l.private_seg_size, 0
	.set _ZN9rocsolver6v33100L23larf_right_kernel_smallILi256EflPfEEvT1_S3_T2_lS3_lPKT0_lS4_lS3_l.uses_vcc, 1
	.set _ZN9rocsolver6v33100L23larf_right_kernel_smallILi256EflPfEEvT1_S3_T2_lS3_lPKT0_lS4_lS3_l.uses_flat_scratch, 0
	.set _ZN9rocsolver6v33100L23larf_right_kernel_smallILi256EflPfEEvT1_S3_T2_lS3_lPKT0_lS4_lS3_l.has_dyn_sized_stack, 0
	.set _ZN9rocsolver6v33100L23larf_right_kernel_smallILi256EflPfEEvT1_S3_T2_lS3_lPKT0_lS4_lS3_l.has_recursion, 0
	.set _ZN9rocsolver6v33100L23larf_right_kernel_smallILi256EflPfEEvT1_S3_T2_lS3_lPKT0_lS4_lS3_l.has_indirect_call, 0
	.section	.AMDGPU.csdata,"",@progbits
; Kernel info:
; codeLenInByte = 1532
; TotalNumSgprs: 38
; NumVgprs: 22
; ScratchSize: 0
; MemoryBound: 0
; FloatMode: 240
; IeeeMode: 1
; LDSByteSize: 8224 bytes/workgroup (compile time only)
; SGPRBlocks: 0
; VGPRBlocks: 1
; NumSGPRsForWavesPerEU: 38
; NumVGPRsForWavesPerEU: 22
; NamedBarCnt: 0
; Occupancy: 16
; WaveLimiterHint : 0
; COMPUTE_PGM_RSRC2:SCRATCH_EN: 0
; COMPUTE_PGM_RSRC2:USER_SGPR: 2
; COMPUTE_PGM_RSRC2:TRAP_HANDLER: 0
; COMPUTE_PGM_RSRC2:TGID_X_EN: 1
; COMPUTE_PGM_RSRC2:TGID_Y_EN: 1
; COMPUTE_PGM_RSRC2:TGID_Z_EN: 0
; COMPUTE_PGM_RSRC2:TIDIG_COMP_CNT: 0
	.section	.text._ZN9rocsolver6v33100L23larf_right_kernel_smallILi512EflPfEEvT1_S3_T2_lS3_lPKT0_lS4_lS3_l,"axG",@progbits,_ZN9rocsolver6v33100L23larf_right_kernel_smallILi512EflPfEEvT1_S3_T2_lS3_lPKT0_lS4_lS3_l,comdat
	.globl	_ZN9rocsolver6v33100L23larf_right_kernel_smallILi512EflPfEEvT1_S3_T2_lS3_lPKT0_lS4_lS3_l ; -- Begin function _ZN9rocsolver6v33100L23larf_right_kernel_smallILi512EflPfEEvT1_S3_T2_lS3_lPKT0_lS4_lS3_l
	.p2align	8
	.type	_ZN9rocsolver6v33100L23larf_right_kernel_smallILi512EflPfEEvT1_S3_T2_lS3_lPKT0_lS4_lS3_l,@function
_ZN9rocsolver6v33100L23larf_right_kernel_smallILi512EflPfEEvT1_S3_T2_lS3_lPKT0_lS4_lS3_l: ; @_ZN9rocsolver6v33100L23larf_right_kernel_smallILi512EflPfEEvT1_S3_T2_lS3_lPKT0_lS4_lS3_l
; %bb.0:
	s_load_b512 s[4:19], s[0:1], 0x0
	s_mov_b64 s[24:25], 0
	s_wait_kmcnt 0x0
	v_cmp_gt_i64_e64 s2, s[12:13], 0
	s_and_b32 vcc_lo, exec_lo, s2
	s_cbranch_vccnz .LBB28_2
; %bb.1:
	s_sub_nc_u64 s[2:3], 1, s[6:7]
	s_delay_alu instid0(SALU_CYCLE_1)
	s_mul_u64 s[24:25], s[12:13], s[2:3]
.LBB28_2:
	v_mov_b32_e32 v1, 0
	s_bfe_u32 s2, ttmp6, 0x4000c
	s_and_b32 s20, ttmp6, 15
	s_add_co_i32 s2, s2, 1
	s_getreg_b32 s3, hwreg(HW_REG_IB_STS2, 6, 4)
	s_mul_i32 s21, ttmp9, s2
	v_cmp_gt_i64_e64 s2, s[6:7], v[0:1]
	s_add_co_i32 s20, s20, s21
	s_cmp_eq_u32 s3, 0
	s_mov_b32 s21, 0
	s_cselect_b32 s22, ttmp9, s20
	s_mov_b32 s23, s21
	s_and_saveexec_b32 s20, s2
	s_cbranch_execz .LBB28_10
; %bb.3:
	v_mov_b32_e32 v3, -1
	v_not_b32_e32 v2, v0
	v_mov_b64_e32 v[4:5], v[0:1]
	s_mul_u64 s[14:15], s[14:15], s[22:23]
	s_mov_b32 s26, -1
	s_mov_b32 s30, exec_lo
	v_add_nc_u64_e32 v[2:3], s[6:7], v[2:3]
	s_delay_alu instid0(VALU_DEP_1)
	v_cmpx_lt_u64_e32 0x1ff, v[2:3]
	s_cbranch_execz .LBB28_7
; %bb.4:
	v_lshrrev_b64 v[2:3], 9, v[2:3]
	s_lshl_b64 s[26:27], s[14:15], 2
	s_lshl_b64 s[28:29], s[10:11], 2
	s_add_nc_u64 s[26:27], s[8:9], s[26:27]
	v_or_b32_e32 v8, 0x200, v0
	s_lshl_b64 s[34:35], s[24:25], 2
	s_add_nc_u64 s[26:27], s[26:27], s[28:29]
	v_add_nc_u64_e32 v[2:3], 1, v[2:3]
	v_mov_b32_e32 v5, 0
	s_add_nc_u64 s[26:27], s[26:27], s[34:35]
	s_mov_b32 s28, s12
	s_mov_b32 s29, s13
	;; [unrolled: 1-line block ×3, first 2 shown]
	s_delay_alu instid0(VALU_DEP_2) | instskip(SKIP_1) | instid1(VALU_DEP_1)
	v_dual_mov_b32 v4, v0 :: v_dual_mov_b32 v7, v3
	v_dual_mov_b32 v9, v5 :: v_dual_bitop2_b32 v6, -2, v2 bitop3:0x40
	v_mov_b64_e32 v[10:11], v[6:7]
.LBB28_5:                               ; =>This Inner Loop Header: Depth=1
	s_delay_alu instid0(VALU_DEP_3) | instskip(NEXT) | instid1(VALU_DEP_3)
	v_mul_u64_e32 v[12:13], s[12:13], v[4:5]
	v_mul_u64_e32 v[14:15], s[28:29], v[8:9]
	s_delay_alu instid0(VALU_DEP_3) | instskip(NEXT) | instid1(VALU_DEP_1)
	v_add_nc_u64_e32 v[10:11], -2, v[10:11]
	v_cmp_eq_u64_e32 vcc_lo, 0, v[10:11]
	s_or_b32 s31, vcc_lo, s31
	s_delay_alu instid0(VALU_DEP_4) | instskip(NEXT) | instid1(VALU_DEP_4)
	v_lshl_add_u64 v[12:13], v[12:13], 2, s[26:27]
	v_lshl_add_u64 v[14:15], v[14:15], 2, s[26:27]
	s_clause 0x1
	global_load_b32 v16, v[12:13], off
	global_load_b32 v17, v[14:15], off
	s_wait_xcnt 0x1
	v_lshlrev_b32_e32 v12, 2, v4
	v_lshlrev_b32_e32 v13, 2, v8
	v_add_nc_u64_e32 v[8:9], 0x400, v[8:9]
	v_add_nc_u64_e32 v[4:5], 0x400, v[4:5]
	s_wait_loadcnt 0x1
	ds_store_b32 v12, v16
	s_wait_loadcnt 0x0
	ds_store_b32 v13, v17
	s_wait_xcnt 0x0
	s_and_not1_b32 exec_lo, exec_lo, s31
	s_cbranch_execnz .LBB28_5
; %bb.6:
	s_or_b32 exec_lo, exec_lo, s31
	v_lshlrev_b64_e32 v[4:5], 9, v[6:7]
	v_cmp_ne_u64_e32 vcc_lo, v[2:3], v[6:7]
	s_delay_alu instid0(VALU_DEP_2)
	v_or_b32_e32 v4, v4, v0
	s_or_not1_b32 s26, vcc_lo, exec_lo
.LBB28_7:
	s_or_b32 exec_lo, exec_lo, s30
	s_delay_alu instid0(SALU_CYCLE_1)
	s_and_b32 exec_lo, exec_lo, s26
	s_cbranch_execz .LBB28_10
; %bb.8:
	v_mul_u64_e32 v[2:3], s[12:13], v[4:5]
	s_lshl_b64 s[10:11], s[10:11], 2
	s_lshl_b64 s[24:25], s[24:25], 2
	s_add_nc_u64 s[8:9], s[8:9], s[10:11]
	s_lshl_b64 s[10:11], s[14:15], 2
	s_add_nc_u64 s[8:9], s[8:9], s[24:25]
	v_lshlrev_b32_e32 v6, 2, v4
	s_add_nc_u64 s[8:9], s[8:9], s[10:11]
	s_mov_b32 s10, 0
	s_delay_alu instid0(VALU_DEP_2)
	v_lshl_add_u64 v[2:3], v[2:3], 2, s[8:9]
	s_lshl_b64 s[8:9], s[12:13], 11
.LBB28_9:                               ; =>This Inner Loop Header: Depth=1
	global_load_b32 v7, v[2:3], off
	v_add_nc_u64_e32 v[4:5], 0x200, v[4:5]
	s_wait_xcnt 0x0
	v_add_nc_u64_e32 v[2:3], s[8:9], v[2:3]
	s_delay_alu instid0(VALU_DEP_2)
	v_cmp_le_i64_e32 vcc_lo, s[6:7], v[4:5]
	s_or_b32 s10, vcc_lo, s10
	s_wait_loadcnt 0x0
	ds_store_b32 v6, v7
	v_add_nc_u32_e32 v6, 0x800, v6
	s_and_not1_b32 exec_lo, exec_lo, s10
	s_cbranch_execnz .LBB28_9
.LBB28_10:
	s_or_b32 exec_lo, exec_lo, s20
	s_bfe_u32 s8, ttmp6, 0x40010
	s_bfe_u32 s9, ttmp6, 0x40004
	s_add_co_i32 s8, s8, 1
	s_wait_dscnt 0x0
	s_mul_i32 s8, ttmp7, s8
	s_barrier_signal -1
	s_add_co_i32 s9, s9, s8
	s_cmp_eq_u32 s3, 0
	s_barrier_wait -1
	s_cselect_b32 s20, ttmp7, s9
	s_delay_alu instid0(SALU_CYCLE_1)
	v_cmp_le_i64_e64 s3, s[4:5], s[20:21]
	s_and_b32 vcc_lo, exec_lo, s3
	s_cbranch_vccnz .LBB28_30
; %bb.11:
	s_load_b256 s[8:15], s[0:1], 0x40
	s_mul_u64 s[18:19], s[18:19], s[22:23]
	v_dual_lshrrev_b32 v8, 3, v0 :: v_dual_bitop2_b32 v4, 31, v0 bitop3:0x40
	s_lshl_b64 s[24:25], s[18:19], 2
	v_mbcnt_lo_u32_b32 v10, -1, 0
	s_wait_xcnt 0x0
	v_cmp_gt_i32_e64 s0, s6, v0
	v_cmp_eq_u32_e64 s1, 0, v0
	v_dual_mov_b32 v12, 0x200c :: v_dual_lshlrev_b32 v9, 2, v0
	v_dual_mov_b32 v11, 0x2004 :: v_dual_mov_b32 v20, 0
	v_mov_b32_e32 v13, 0x2014
	v_mov_b32_e32 v14, 0x201c
	;; [unrolled: 1-line block ×5, first 2 shown]
	v_cmp_eq_u32_e64 s3, 0, v4
	v_lshl_or_b32 v18, v10, 2, 64
	s_wait_kmcnt 0x0
	v_mul_u64_e32 v[2:3], s[12:13], v[0:1]
	s_mul_u64 s[14:15], s[14:15], s[22:23]
	s_lshl_b64 s[10:11], s[10:11], 2
	s_lshl_b64 s[14:15], s[14:15], 2
	s_cmp_gt_i32 s6, 1
	v_mul_lo_u32 v19, v0, s12
	s_cselect_b32 s18, -1, 0
	s_lshl_b64 s[22:23], s[20:21], 2
	s_delay_alu instid0(SALU_CYCLE_1)
	s_add_nc_u64 s[22:23], s[8:9], s[22:23]
	s_add_nc_u64 s[8:9], s[8:9], s[14:15]
	;; [unrolled: 1-line block ×6, first 2 shown]
	s_lshl_b32 s16, s12, 9
	s_lshl_b64 s[12:13], s[12:13], 11
	s_delay_alu instid0(VALU_DEP_2)
	v_lshl_add_u64 v[2:3], v[2:3], 2, s[14:15]
	s_branch .LBB28_13
.LBB28_12:                              ;   in Loop: Header=BB28_13 Depth=1
	s_or_b32 exec_lo, exec_lo, s14
	s_add_nc_u64 s[20:21], s[20:21], 64
	v_add_nc_u64_e32 v[2:3], 0x100, v[2:3]
	v_cmp_ge_i64_e64 s14, s[20:21], s[4:5]
	s_and_b32 vcc_lo, exec_lo, s14
	s_cbranch_vccnz .LBB28_30
.LBB28_13:                              ; =>This Loop Header: Depth=1
                                        ;     Child Loop BB28_15 Depth 2
                                        ;     Child Loop BB28_29 Depth 2
	v_mov_b32_e32 v4, 0
	s_and_saveexec_b32 s17, s0
	s_cbranch_execz .LBB28_17
; %bb.14:                               ;   in Loop: Header=BB28_13 Depth=1
	v_dual_mov_b32 v4, 0 :: v_dual_mov_b32 v5, v19
	v_dual_mov_b32 v6, v9 :: v_dual_mov_b32 v7, v0
	s_lshl_b64 s[14:15], s[20:21], 2
	s_mov_b32 s19, 0
	s_add_nc_u64 s[14:15], s[8:9], s[14:15]
.LBB28_15:                              ;   Parent Loop BB28_13 Depth=1
                                        ; =>  This Inner Loop Header: Depth=2
	global_load_b32 v21, v5, s[14:15] scale_offset
	ds_load_b32 v22, v6
	v_add_nc_u32_e32 v7, 0x200, v7
	v_add_nc_u32_e32 v6, 0x800, v6
	s_wait_xcnt 0x0
	v_add_nc_u32_e32 v5, s16, v5
	s_wait_loadcnt_dscnt 0x0
	v_fmac_f32_e32 v4, v22, v21
	v_cmp_le_i32_e32 vcc_lo, s6, v7
	s_or_b32 s19, vcc_lo, s19
	s_delay_alu instid0(SALU_CYCLE_1)
	s_and_not1_b32 exec_lo, exec_lo, s19
	s_cbranch_execnz .LBB28_15
; %bb.16:                               ;   in Loop: Header=BB28_13 Depth=1
	s_or_b32 exec_lo, exec_lo, s19
.LBB28_17:                              ;   in Loop: Header=BB28_13 Depth=1
	s_delay_alu instid0(SALU_CYCLE_1) | instskip(NEXT) | instid1(SALU_CYCLE_1)
	s_or_b32 exec_lo, exec_lo, s17
	s_and_b32 vcc_lo, exec_lo, s18
	s_cbranch_vccz .LBB28_24
; %bb.18:                               ;   in Loop: Header=BB28_13 Depth=1
	v_cmp_ne_u32_e32 vcc_lo, 31, v10
	v_add_co_ci_u32_e64 v5, null, 0, v10, vcc_lo
	v_cmp_gt_u32_e32 vcc_lo, 30, v10
	s_delay_alu instid0(VALU_DEP_2)
	v_lshlrev_b32_e32 v5, 2, v5
	v_cndmask_b32_e64 v6, 0, 2, vcc_lo
	v_cmp_gt_u32_e32 vcc_lo, 28, v10
	ds_bpermute_b32 v5, v5, v4
	v_add_lshl_u32 v6, v6, v10, 2
	v_cndmask_b32_e64 v7, 0, 4, vcc_lo
	v_cmp_gt_u32_e32 vcc_lo, 24, v10
	s_delay_alu instid0(VALU_DEP_2)
	v_add_lshl_u32 v7, v7, v10, 2
	s_wait_dscnt 0x0
	v_add_f32_e32 v5, v4, v5
	ds_bpermute_b32 v6, v6, v5
	s_wait_dscnt 0x0
	v_add_f32_e32 v5, v5, v6
	ds_bpermute_b32 v6, v7, v5
	v_cndmask_b32_e64 v7, 0, 8, vcc_lo
	s_wait_dscnt 0x0
	v_add_f32_e32 v5, v5, v6
	s_delay_alu instid0(VALU_DEP_2)
	v_add_lshl_u32 v6, v7, v10, 2
	ds_bpermute_b32 v6, v6, v5
	s_wait_dscnt 0x0
	v_add_f32_e32 v5, v5, v6
	ds_bpermute_b32 v6, v18, v5
	s_wait_dscnt 0x0
	v_add_f32_e32 v5, v5, v6
	s_and_saveexec_b32 s14, s3
; %bb.19:                               ;   in Loop: Header=BB28_13 Depth=1
	ds_store_b32 v8, v5 offset:8192
; %bb.20:                               ;   in Loop: Header=BB28_13 Depth=1
	s_or_b32 exec_lo, exec_lo, s14
	s_mov_b32 s15, 0
	s_mov_b32 s14, 0
	s_wait_dscnt 0x0
	s_barrier_signal -1
	s_barrier_wait -1
                                        ; implicit-def: $vgpr6
	s_and_saveexec_b32 s17, s1
	s_delay_alu instid0(SALU_CYCLE_1)
	s_xor_b32 s17, exec_lo, s17
	s_cbranch_execz .LBB28_22
; %bb.21:                               ;   in Loop: Header=BB28_13 Depth=1
	ds_load_2addr_b32 v[6:7], v11 offset1:1
	ds_load_2addr_b32 v[22:23], v12 offset1:1
	;; [unrolled: 1-line block ×4, first 2 shown]
	s_mov_b32 s14, exec_lo
	s_wait_dscnt 0x3
	v_add_f32_e32 v5, v5, v6
	s_delay_alu instid0(VALU_DEP_1) | instskip(SKIP_3) | instid1(VALU_DEP_1)
	v_add_f32_e32 v5, v5, v7
	ds_load_2addr_b32 v[6:7], v15 offset1:1
	s_wait_dscnt 0x3
	v_add_f32_e32 v5, v5, v22
	v_add_f32_e32 v5, v5, v23
	ds_load_2addr_b32 v[22:23], v16 offset1:1
	s_wait_dscnt 0x3
	v_add_f32_e32 v5, v5, v24
	s_delay_alu instid0(VALU_DEP_1) | instskip(SKIP_4) | instid1(VALU_DEP_1)
	v_add_f32_e32 v5, v5, v25
	ds_load_2addr_b32 v[24:25], v17 offset1:1
	ds_load_b32 v21, v20 offset:8252
	s_wait_dscnt 0x4
	v_add_f32_e32 v5, v5, v26
	v_add_f32_e32 v5, v5, v27
	s_wait_dscnt 0x3
	s_delay_alu instid0(VALU_DEP_1) | instskip(NEXT) | instid1(VALU_DEP_1)
	v_add_f32_e32 v5, v5, v6
	v_add_f32_e32 v5, v5, v7
	s_wait_dscnt 0x2
	s_delay_alu instid0(VALU_DEP_1) | instskip(NEXT) | instid1(VALU_DEP_1)
	;; [unrolled: 4-line block ×3, first 2 shown]
	v_add_f32_e32 v5, v5, v24
	v_add_f32_e32 v5, v5, v25
	s_wait_dscnt 0x0
	s_delay_alu instid0(VALU_DEP_1)
	v_add_f32_e32 v6, v5, v21
.LBB28_22:                              ;   in Loop: Header=BB28_13 Depth=1
	s_or_b32 exec_lo, exec_lo, s17
	s_delay_alu instid0(SALU_CYCLE_1)
	s_and_b32 vcc_lo, exec_lo, s15
	s_cbranch_vccnz .LBB28_25
.LBB28_23:                              ;   in Loop: Header=BB28_13 Depth=1
	s_delay_alu instid0(VALU_DEP_1)
	v_mov_b32_e32 v4, v6
	s_and_saveexec_b32 s15, s14
	s_cbranch_execnz .LBB28_26
	s_branch .LBB28_27
.LBB28_24:                              ;   in Loop: Header=BB28_13 Depth=1
	s_mov_b32 s14, 0
                                        ; implicit-def: $vgpr6
	s_cbranch_execz .LBB28_23
.LBB28_25:                              ;   in Loop: Header=BB28_13 Depth=1
	s_and_not1_b32 s14, s14, exec_lo
	s_and_b32 s15, s1, exec_lo
	s_delay_alu instid0(SALU_CYCLE_1) | instskip(NEXT) | instid1(SALU_CYCLE_1)
	s_or_b32 s14, s14, s15
	s_and_saveexec_b32 s15, s14
.LBB28_26:                              ;   in Loop: Header=BB28_13 Depth=1
	ds_store_b32 v20, v4 offset:8192
.LBB28_27:                              ;   in Loop: Header=BB28_13 Depth=1
	s_or_b32 exec_lo, exec_lo, s15
	s_wait_dscnt 0x0
	s_barrier_signal -1
	s_barrier_wait -1
	s_and_saveexec_b32 s14, s2
	s_cbranch_execz .LBB28_12
; %bb.28:                               ;   in Loop: Header=BB28_13 Depth=1
	global_load_b32 v4, v20, s[10:11]
	ds_load_b32 v6, v20 offset:8192
	s_mov_b32 s15, 0
	s_wait_loadcnt 0x0
	v_xor_b32_e32 v7, 0x80000000, v4
	v_mov_b32_e32 v21, v9
	v_mov_b64_e32 v[4:5], v[2:3]
	s_wait_dscnt 0x0
	s_delay_alu instid0(VALU_DEP_3)
	v_mul_f32_e32 v22, v6, v7
	v_mov_b64_e32 v[6:7], v[0:1]
.LBB28_29:                              ;   Parent Loop BB28_13 Depth=1
                                        ; =>  This Inner Loop Header: Depth=2
	global_load_b32 v23, v[4:5], off
	ds_load_b32 v24, v21
	v_add_nc_u64_e32 v[6:7], 0x200, v[6:7]
	v_add_nc_u32_e32 v21, 0x800, v21
	s_delay_alu instid0(VALU_DEP_2)
	v_cmp_le_i64_e32 vcc_lo, s[6:7], v[6:7]
	s_or_b32 s15, vcc_lo, s15
	s_wait_loadcnt_dscnt 0x0
	v_fmac_f32_e32 v23, v22, v24
	global_store_b32 v[4:5], v23, off
	s_wait_xcnt 0x0
	v_add_nc_u64_e32 v[4:5], s[12:13], v[4:5]
	s_and_not1_b32 exec_lo, exec_lo, s15
	s_cbranch_execnz .LBB28_29
	s_branch .LBB28_12
.LBB28_30:
	s_endpgm
	.section	.rodata,"a",@progbits
	.p2align	6, 0x0
	.amdhsa_kernel _ZN9rocsolver6v33100L23larf_right_kernel_smallILi512EflPfEEvT1_S3_T2_lS3_lPKT0_lS4_lS3_l
		.amdhsa_group_segment_fixed_size 8256
		.amdhsa_private_segment_fixed_size 0
		.amdhsa_kernarg_size 96
		.amdhsa_user_sgpr_count 2
		.amdhsa_user_sgpr_dispatch_ptr 0
		.amdhsa_user_sgpr_queue_ptr 0
		.amdhsa_user_sgpr_kernarg_segment_ptr 1
		.amdhsa_user_sgpr_dispatch_id 0
		.amdhsa_user_sgpr_kernarg_preload_length 0
		.amdhsa_user_sgpr_kernarg_preload_offset 0
		.amdhsa_user_sgpr_private_segment_size 0
		.amdhsa_wavefront_size32 1
		.amdhsa_uses_dynamic_stack 0
		.amdhsa_enable_private_segment 0
		.amdhsa_system_sgpr_workgroup_id_x 1
		.amdhsa_system_sgpr_workgroup_id_y 1
		.amdhsa_system_sgpr_workgroup_id_z 0
		.amdhsa_system_sgpr_workgroup_info 0
		.amdhsa_system_vgpr_workitem_id 0
		.amdhsa_next_free_vgpr 28
		.amdhsa_next_free_sgpr 36
		.amdhsa_named_barrier_count 0
		.amdhsa_reserve_vcc 1
		.amdhsa_float_round_mode_32 0
		.amdhsa_float_round_mode_16_64 0
		.amdhsa_float_denorm_mode_32 3
		.amdhsa_float_denorm_mode_16_64 3
		.amdhsa_fp16_overflow 0
		.amdhsa_memory_ordered 1
		.amdhsa_forward_progress 1
		.amdhsa_inst_pref_size 13
		.amdhsa_round_robin_scheduling 0
		.amdhsa_exception_fp_ieee_invalid_op 0
		.amdhsa_exception_fp_denorm_src 0
		.amdhsa_exception_fp_ieee_div_zero 0
		.amdhsa_exception_fp_ieee_overflow 0
		.amdhsa_exception_fp_ieee_underflow 0
		.amdhsa_exception_fp_ieee_inexact 0
		.amdhsa_exception_int_div_zero 0
	.end_amdhsa_kernel
	.section	.text._ZN9rocsolver6v33100L23larf_right_kernel_smallILi512EflPfEEvT1_S3_T2_lS3_lPKT0_lS4_lS3_l,"axG",@progbits,_ZN9rocsolver6v33100L23larf_right_kernel_smallILi512EflPfEEvT1_S3_T2_lS3_lPKT0_lS4_lS3_l,comdat
.Lfunc_end28:
	.size	_ZN9rocsolver6v33100L23larf_right_kernel_smallILi512EflPfEEvT1_S3_T2_lS3_lPKT0_lS4_lS3_l, .Lfunc_end28-_ZN9rocsolver6v33100L23larf_right_kernel_smallILi512EflPfEEvT1_S3_T2_lS3_lPKT0_lS4_lS3_l
                                        ; -- End function
	.set _ZN9rocsolver6v33100L23larf_right_kernel_smallILi512EflPfEEvT1_S3_T2_lS3_lPKT0_lS4_lS3_l.num_vgpr, 28
	.set _ZN9rocsolver6v33100L23larf_right_kernel_smallILi512EflPfEEvT1_S3_T2_lS3_lPKT0_lS4_lS3_l.num_agpr, 0
	.set _ZN9rocsolver6v33100L23larf_right_kernel_smallILi512EflPfEEvT1_S3_T2_lS3_lPKT0_lS4_lS3_l.numbered_sgpr, 36
	.set _ZN9rocsolver6v33100L23larf_right_kernel_smallILi512EflPfEEvT1_S3_T2_lS3_lPKT0_lS4_lS3_l.num_named_barrier, 0
	.set _ZN9rocsolver6v33100L23larf_right_kernel_smallILi512EflPfEEvT1_S3_T2_lS3_lPKT0_lS4_lS3_l.private_seg_size, 0
	.set _ZN9rocsolver6v33100L23larf_right_kernel_smallILi512EflPfEEvT1_S3_T2_lS3_lPKT0_lS4_lS3_l.uses_vcc, 1
	.set _ZN9rocsolver6v33100L23larf_right_kernel_smallILi512EflPfEEvT1_S3_T2_lS3_lPKT0_lS4_lS3_l.uses_flat_scratch, 0
	.set _ZN9rocsolver6v33100L23larf_right_kernel_smallILi512EflPfEEvT1_S3_T2_lS3_lPKT0_lS4_lS3_l.has_dyn_sized_stack, 0
	.set _ZN9rocsolver6v33100L23larf_right_kernel_smallILi512EflPfEEvT1_S3_T2_lS3_lPKT0_lS4_lS3_l.has_recursion, 0
	.set _ZN9rocsolver6v33100L23larf_right_kernel_smallILi512EflPfEEvT1_S3_T2_lS3_lPKT0_lS4_lS3_l.has_indirect_call, 0
	.section	.AMDGPU.csdata,"",@progbits
; Kernel info:
; codeLenInByte = 1656
; TotalNumSgprs: 38
; NumVgprs: 28
; ScratchSize: 0
; MemoryBound: 0
; FloatMode: 240
; IeeeMode: 1
; LDSByteSize: 8256 bytes/workgroup (compile time only)
; SGPRBlocks: 0
; VGPRBlocks: 1
; NumSGPRsForWavesPerEU: 38
; NumVGPRsForWavesPerEU: 28
; NamedBarCnt: 0
; Occupancy: 16
; WaveLimiterHint : 0
; COMPUTE_PGM_RSRC2:SCRATCH_EN: 0
; COMPUTE_PGM_RSRC2:USER_SGPR: 2
; COMPUTE_PGM_RSRC2:TRAP_HANDLER: 0
; COMPUTE_PGM_RSRC2:TGID_X_EN: 1
; COMPUTE_PGM_RSRC2:TGID_Y_EN: 1
; COMPUTE_PGM_RSRC2:TGID_Z_EN: 0
; COMPUTE_PGM_RSRC2:TIDIG_COMP_CNT: 0
	.section	.text._ZN9rocsolver6v33100L23larf_right_kernel_smallILi1024EflPfEEvT1_S3_T2_lS3_lPKT0_lS4_lS3_l,"axG",@progbits,_ZN9rocsolver6v33100L23larf_right_kernel_smallILi1024EflPfEEvT1_S3_T2_lS3_lPKT0_lS4_lS3_l,comdat
	.globl	_ZN9rocsolver6v33100L23larf_right_kernel_smallILi1024EflPfEEvT1_S3_T2_lS3_lPKT0_lS4_lS3_l ; -- Begin function _ZN9rocsolver6v33100L23larf_right_kernel_smallILi1024EflPfEEvT1_S3_T2_lS3_lPKT0_lS4_lS3_l
	.p2align	8
	.type	_ZN9rocsolver6v33100L23larf_right_kernel_smallILi1024EflPfEEvT1_S3_T2_lS3_lPKT0_lS4_lS3_l,@function
_ZN9rocsolver6v33100L23larf_right_kernel_smallILi1024EflPfEEvT1_S3_T2_lS3_lPKT0_lS4_lS3_l: ; @_ZN9rocsolver6v33100L23larf_right_kernel_smallILi1024EflPfEEvT1_S3_T2_lS3_lPKT0_lS4_lS3_l
; %bb.0:
	s_load_b512 s[4:19], s[0:1], 0x0
	s_mov_b64 s[24:25], 0
	s_wait_kmcnt 0x0
	v_cmp_gt_i64_e64 s2, s[12:13], 0
	s_and_b32 vcc_lo, exec_lo, s2
	s_cbranch_vccnz .LBB29_2
; %bb.1:
	s_sub_nc_u64 s[2:3], 1, s[6:7]
	s_delay_alu instid0(SALU_CYCLE_1)
	s_mul_u64 s[24:25], s[12:13], s[2:3]
.LBB29_2:
	v_mov_b32_e32 v1, 0
	s_bfe_u32 s2, ttmp6, 0x4000c
	s_and_b32 s20, ttmp6, 15
	s_add_co_i32 s2, s2, 1
	s_getreg_b32 s3, hwreg(HW_REG_IB_STS2, 6, 4)
	s_mul_i32 s21, ttmp9, s2
	v_cmp_gt_i64_e64 s2, s[6:7], v[0:1]
	s_add_co_i32 s20, s20, s21
	s_cmp_eq_u32 s3, 0
	s_mov_b32 s21, 0
	s_cselect_b32 s22, ttmp9, s20
	s_mov_b32 s23, s21
	s_and_saveexec_b32 s20, s2
	s_cbranch_execz .LBB29_10
; %bb.3:
	v_mov_b32_e32 v3, -1
	v_not_b32_e32 v2, v0
	s_mul_u64 s[14:15], s[14:15], s[22:23]
	s_mov_b32 s26, -1
	s_mov_b32 s30, exec_lo
	s_delay_alu instid0(VALU_DEP_1) | instskip(SKIP_1) | instid1(VALU_DEP_2)
	v_add_nc_u64_e32 v[4:5], s[6:7], v[2:3]
	v_mov_b64_e32 v[2:3], v[0:1]
	v_cmpx_lt_u64_e32 0x3ff, v[4:5]
	s_cbranch_execz .LBB29_7
; %bb.4:
	v_lshrrev_b64 v[2:3], 10, v[4:5]
	s_lshl_b64 s[26:27], s[14:15], 2
	s_lshl_b64 s[28:29], s[10:11], 2
	s_add_nc_u64 s[26:27], s[8:9], s[26:27]
	s_lshl_b64 s[34:35], s[24:25], 2
	s_add_nc_u64 s[26:27], s[26:27], s[28:29]
	s_mov_b32 s28, s12
	v_add_nc_u64_e32 v[6:7], 1, v[2:3]
	v_or_b32_e32 v2, 0x400, v0
	v_mov_b32_e32 v3, v1
	s_add_nc_u64 s[26:27], s[26:27], s[34:35]
	s_mov_b32 s29, s13
	s_mov_b32 s31, 0
	s_delay_alu instid0(VALU_DEP_1) | instskip(SKIP_2) | instid1(VALU_DEP_2)
	v_mov_b64_e32 v[4:5], v[2:3]
	v_dual_mov_b32 v9, v7 :: v_dual_bitop2_b32 v8, -2, v6 bitop3:0x40
	v_mov_b64_e32 v[2:3], v[0:1]
	v_mov_b64_e32 v[10:11], v[8:9]
.LBB29_5:                               ; =>This Inner Loop Header: Depth=1
	s_delay_alu instid0(VALU_DEP_2) | instskip(SKIP_1) | instid1(VALU_DEP_3)
	v_mul_u64_e32 v[12:13], s[12:13], v[2:3]
	v_mul_u64_e32 v[14:15], s[28:29], v[4:5]
	v_add_nc_u64_e32 v[10:11], -2, v[10:11]
	s_delay_alu instid0(VALU_DEP_1) | instskip(SKIP_1) | instid1(VALU_DEP_4)
	v_cmp_eq_u64_e32 vcc_lo, 0, v[10:11]
	s_or_b32 s31, vcc_lo, s31
	v_lshl_add_u64 v[12:13], v[12:13], 2, s[26:27]
	s_delay_alu instid0(VALU_DEP_4)
	v_lshl_add_u64 v[14:15], v[14:15], 2, s[26:27]
	s_clause 0x1
	global_load_b32 v16, v[12:13], off
	global_load_b32 v17, v[14:15], off
	s_wait_xcnt 0x1
	v_dual_lshlrev_b32 v12, 2, v2 :: v_dual_lshlrev_b32 v13, 2, v4
	v_add_nc_u64_e32 v[4:5], 0x800, v[4:5]
	v_add_nc_u64_e32 v[2:3], 0x800, v[2:3]
	s_wait_loadcnt 0x1
	ds_store_b32 v12, v16
	s_wait_loadcnt 0x0
	ds_store_b32 v13, v17
	s_wait_xcnt 0x0
	s_and_not1_b32 exec_lo, exec_lo, s31
	s_cbranch_execnz .LBB29_5
; %bb.6:
	s_or_b32 exec_lo, exec_lo, s31
	v_lshlrev_b64_e32 v[2:3], 10, v[8:9]
	v_cmp_ne_u64_e32 vcc_lo, v[6:7], v[8:9]
	s_delay_alu instid0(VALU_DEP_2)
	v_or_b32_e32 v2, v2, v0
	s_or_not1_b32 s26, vcc_lo, exec_lo
.LBB29_7:
	s_or_b32 exec_lo, exec_lo, s30
	s_delay_alu instid0(SALU_CYCLE_1)
	s_and_b32 exec_lo, exec_lo, s26
	s_cbranch_execz .LBB29_10
; %bb.8:
	s_delay_alu instid0(VALU_DEP_1)
	v_mul_u64_e32 v[4:5], s[12:13], v[2:3]
	s_lshl_b64 s[10:11], s[10:11], 2
	s_lshl_b64 s[24:25], s[24:25], 2
	s_add_nc_u64 s[8:9], s[8:9], s[10:11]
	s_lshl_b64 s[10:11], s[14:15], 2
	s_add_nc_u64 s[8:9], s[8:9], s[24:25]
	v_lshlrev_b32_e32 v6, 2, v2
	s_add_nc_u64 s[8:9], s[8:9], s[10:11]
	s_mov_b32 s10, 0
	s_delay_alu instid0(VALU_DEP_2)
	v_lshl_add_u64 v[4:5], v[4:5], 2, s[8:9]
	s_lshl_b64 s[8:9], s[12:13], 12
.LBB29_9:                               ; =>This Inner Loop Header: Depth=1
	global_load_b32 v7, v[4:5], off
	v_add_nc_u64_e32 v[2:3], 0x400, v[2:3]
	s_wait_xcnt 0x0
	v_add_nc_u64_e32 v[4:5], s[8:9], v[4:5]
	s_delay_alu instid0(VALU_DEP_2)
	v_cmp_le_i64_e32 vcc_lo, s[6:7], v[2:3]
	s_or_b32 s10, vcc_lo, s10
	s_wait_loadcnt 0x0
	ds_store_b32 v6, v7
	v_add_nc_u32_e32 v6, 0x1000, v6
	s_and_not1_b32 exec_lo, exec_lo, s10
	s_cbranch_execnz .LBB29_9
.LBB29_10:
	s_or_b32 exec_lo, exec_lo, s20
	s_bfe_u32 s8, ttmp6, 0x40010
	s_bfe_u32 s9, ttmp6, 0x40004
	s_add_co_i32 s8, s8, 1
	s_wait_dscnt 0x0
	s_mul_i32 s8, ttmp7, s8
	s_barrier_signal -1
	s_add_co_i32 s9, s9, s8
	s_cmp_eq_u32 s3, 0
	s_barrier_wait -1
	s_cselect_b32 s20, ttmp7, s9
	s_delay_alu instid0(SALU_CYCLE_1)
	v_cmp_le_i64_e64 s3, s[4:5], s[20:21]
	s_and_b32 vcc_lo, exec_lo, s3
	s_cbranch_vccnz .LBB29_30
; %bb.11:
	s_load_b256 s[8:15], s[0:1], 0x40
	s_mul_u64 s[18:19], s[18:19], s[22:23]
	v_dual_lshrrev_b32 v8, 3, v0 :: v_dual_bitop2_b32 v4, 31, v0 bitop3:0x40
	s_lshl_b64 s[24:25], s[18:19], 2
	v_mbcnt_lo_u32_b32 v10, -1, 0
	s_wait_xcnt 0x0
	v_cmp_gt_i32_e64 s0, s6, v0
	v_cmp_eq_u32_e64 s1, 0, v0
	v_dual_mov_b32 v12, 0x200c :: v_dual_lshlrev_b32 v9, 2, v0
	v_dual_mov_b32 v11, 0x2004 :: v_dual_mov_b32 v28, 0
	v_mov_b32_e32 v13, 0x2014
	v_mov_b32_e32 v14, 0x201c
	;; [unrolled: 1-line block ×8, first 2 shown]
	s_wait_kmcnt 0x0
	v_mul_u64_e32 v[2:3], s[12:13], v[0:1]
	s_mul_u64 s[14:15], s[14:15], s[22:23]
	s_lshl_b64 s[10:11], s[10:11], 2
	s_lshl_b64 s[14:15], s[14:15], 2
	s_cmp_gt_i32 s6, 1
	v_mul_lo_u32 v27, v0, s12
	s_cselect_b32 s18, -1, 0
	s_lshl_b64 s[22:23], s[20:21], 2
	v_mov_b32_e32 v21, 0x2054
	s_add_nc_u64 s[22:23], s[8:9], s[22:23]
	s_add_nc_u64 s[8:9], s[8:9], s[14:15]
	;; [unrolled: 1-line block ×3, first 2 shown]
	v_mov_b32_e32 v22, 0x205c
	s_add_nc_u64 s[14:15], s[22:23], s[14:15]
	v_mov_b32_e32 v23, 0x2064
	v_mov_b32_e32 v24, 0x206c
	;; [unrolled: 1-line block ×3, first 2 shown]
	v_cmp_eq_u32_e64 s3, 0, v4
	v_lshl_or_b32 v26, v10, 2, 64
	s_add_nc_u64 s[8:9], s[8:9], s[10:11]
	s_add_nc_u64 s[10:11], s[16:17], s[24:25]
	s_lshl_b32 s16, s12, 10
	s_lshl_b64 s[12:13], s[12:13], 12
	v_lshl_add_u64 v[2:3], v[2:3], 2, s[14:15]
	s_branch .LBB29_13
.LBB29_12:                              ;   in Loop: Header=BB29_13 Depth=1
	s_or_b32 exec_lo, exec_lo, s14
	s_add_nc_u64 s[20:21], s[20:21], 64
	v_add_nc_u64_e32 v[2:3], 0x100, v[2:3]
	v_cmp_ge_i64_e64 s14, s[20:21], s[4:5]
	s_and_b32 vcc_lo, exec_lo, s14
	s_cbranch_vccnz .LBB29_30
.LBB29_13:                              ; =>This Loop Header: Depth=1
                                        ;     Child Loop BB29_15 Depth 2
                                        ;     Child Loop BB29_29 Depth 2
	v_mov_b32_e32 v4, 0
	s_and_saveexec_b32 s17, s0
	s_cbranch_execz .LBB29_17
; %bb.14:                               ;   in Loop: Header=BB29_13 Depth=1
	v_dual_mov_b32 v4, 0 :: v_dual_mov_b32 v5, v27
	v_dual_mov_b32 v6, v9 :: v_dual_mov_b32 v7, v0
	s_lshl_b64 s[14:15], s[20:21], 2
	s_mov_b32 s19, 0
	s_add_nc_u64 s[14:15], s[8:9], s[14:15]
.LBB29_15:                              ;   Parent Loop BB29_13 Depth=1
                                        ; =>  This Inner Loop Header: Depth=2
	global_load_b32 v29, v5, s[14:15] scale_offset
	ds_load_b32 v30, v6
	v_add_nc_u32_e32 v7, 0x400, v7
	v_add_nc_u32_e32 v6, 0x1000, v6
	s_wait_xcnt 0x0
	v_add_nc_u32_e32 v5, s16, v5
	s_wait_loadcnt_dscnt 0x0
	v_fmac_f32_e32 v4, v30, v29
	v_cmp_le_i32_e32 vcc_lo, s6, v7
	s_or_b32 s19, vcc_lo, s19
	s_delay_alu instid0(SALU_CYCLE_1)
	s_and_not1_b32 exec_lo, exec_lo, s19
	s_cbranch_execnz .LBB29_15
; %bb.16:                               ;   in Loop: Header=BB29_13 Depth=1
	s_or_b32 exec_lo, exec_lo, s19
.LBB29_17:                              ;   in Loop: Header=BB29_13 Depth=1
	s_delay_alu instid0(SALU_CYCLE_1) | instskip(NEXT) | instid1(SALU_CYCLE_1)
	s_or_b32 exec_lo, exec_lo, s17
	s_and_b32 vcc_lo, exec_lo, s18
	s_cbranch_vccz .LBB29_24
; %bb.18:                               ;   in Loop: Header=BB29_13 Depth=1
	v_cmp_ne_u32_e32 vcc_lo, 31, v10
	v_add_co_ci_u32_e64 v5, null, 0, v10, vcc_lo
	v_cmp_gt_u32_e32 vcc_lo, 30, v10
	s_delay_alu instid0(VALU_DEP_2)
	v_lshlrev_b32_e32 v5, 2, v5
	v_cndmask_b32_e64 v6, 0, 2, vcc_lo
	v_cmp_gt_u32_e32 vcc_lo, 28, v10
	ds_bpermute_b32 v5, v5, v4
	v_add_lshl_u32 v6, v6, v10, 2
	v_cndmask_b32_e64 v7, 0, 4, vcc_lo
	v_cmp_gt_u32_e32 vcc_lo, 24, v10
	s_delay_alu instid0(VALU_DEP_2)
	v_add_lshl_u32 v7, v7, v10, 2
	s_wait_dscnt 0x0
	v_add_f32_e32 v5, v4, v5
	ds_bpermute_b32 v6, v6, v5
	s_wait_dscnt 0x0
	v_add_f32_e32 v5, v5, v6
	ds_bpermute_b32 v6, v7, v5
	v_cndmask_b32_e64 v7, 0, 8, vcc_lo
	s_wait_dscnt 0x0
	v_add_f32_e32 v5, v5, v6
	s_delay_alu instid0(VALU_DEP_2)
	v_add_lshl_u32 v6, v7, v10, 2
	ds_bpermute_b32 v6, v6, v5
	s_wait_dscnt 0x0
	v_add_f32_e32 v5, v5, v6
	ds_bpermute_b32 v6, v26, v5
	s_wait_dscnt 0x0
	v_add_f32_e32 v5, v5, v6
	s_and_saveexec_b32 s14, s3
; %bb.19:                               ;   in Loop: Header=BB29_13 Depth=1
	ds_store_b32 v8, v5 offset:8192
; %bb.20:                               ;   in Loop: Header=BB29_13 Depth=1
	s_or_b32 exec_lo, exec_lo, s14
	s_mov_b32 s15, 0
	s_mov_b32 s14, 0
	s_wait_dscnt 0x0
	s_barrier_signal -1
	s_barrier_wait -1
                                        ; implicit-def: $vgpr6
	s_and_saveexec_b32 s17, s1
	s_delay_alu instid0(SALU_CYCLE_1)
	s_xor_b32 s17, exec_lo, s17
	s_cbranch_execz .LBB29_22
; %bb.21:                               ;   in Loop: Header=BB29_13 Depth=1
	ds_load_2addr_b32 v[6:7], v11 offset1:1
	ds_load_2addr_b32 v[30:31], v12 offset1:1
	;; [unrolled: 1-line block ×4, first 2 shown]
	s_mov_b32 s14, exec_lo
	s_wait_dscnt 0x3
	v_add_f32_e32 v5, v5, v6
	s_delay_alu instid0(VALU_DEP_1) | instskip(SKIP_3) | instid1(VALU_DEP_1)
	v_add_f32_e32 v5, v5, v7
	ds_load_2addr_b32 v[6:7], v15 offset1:1
	s_wait_dscnt 0x3
	v_add_f32_e32 v5, v5, v30
	v_add_f32_e32 v5, v5, v31
	ds_load_2addr_b32 v[30:31], v16 offset1:1
	s_wait_dscnt 0x3
	v_add_f32_e32 v5, v5, v32
	s_delay_alu instid0(VALU_DEP_1) | instskip(SKIP_1) | instid1(VALU_DEP_1)
	v_add_f32_e32 v5, v5, v33
	s_wait_dscnt 0x2
	v_add_f32_e32 v5, v5, v34
	s_delay_alu instid0(VALU_DEP_1) | instskip(SKIP_4) | instid1(VALU_DEP_1)
	v_add_f32_e32 v5, v5, v35
	ds_load_2addr_b32 v[32:33], v17 offset1:1
	ds_load_2addr_b32 v[34:35], v18 offset1:1
	s_wait_dscnt 0x3
	v_add_f32_e32 v5, v5, v6
	v_add_f32_e32 v5, v5, v7
	ds_load_2addr_b32 v[6:7], v19 offset1:1
	s_wait_dscnt 0x3
	v_add_f32_e32 v5, v5, v30
	s_delay_alu instid0(VALU_DEP_1) | instskip(SKIP_3) | instid1(VALU_DEP_1)
	v_add_f32_e32 v5, v5, v31
	ds_load_2addr_b32 v[30:31], v20 offset1:1
	s_wait_dscnt 0x3
	v_add_f32_e32 v5, v5, v32
	v_add_f32_e32 v5, v5, v33
	s_wait_dscnt 0x2
	s_delay_alu instid0(VALU_DEP_1) | instskip(NEXT) | instid1(VALU_DEP_1)
	v_add_f32_e32 v5, v5, v34
	v_add_f32_e32 v5, v5, v35
	ds_load_2addr_b32 v[32:33], v21 offset1:1
	ds_load_2addr_b32 v[34:35], v22 offset1:1
	s_wait_dscnt 0x3
	v_add_f32_e32 v5, v5, v6
	s_delay_alu instid0(VALU_DEP_1) | instskip(SKIP_3) | instid1(VALU_DEP_1)
	v_add_f32_e32 v5, v5, v7
	ds_load_2addr_b32 v[6:7], v23 offset1:1
	s_wait_dscnt 0x3
	v_add_f32_e32 v5, v5, v30
	v_add_f32_e32 v5, v5, v31
	ds_load_2addr_b32 v[30:31], v24 offset1:1
	s_wait_dscnt 0x3
	v_add_f32_e32 v5, v5, v32
	s_delay_alu instid0(VALU_DEP_1) | instskip(SKIP_4) | instid1(VALU_DEP_1)
	v_add_f32_e32 v5, v5, v33
	ds_load_2addr_b32 v[32:33], v25 offset1:1
	ds_load_b32 v29, v28 offset:8316
	s_wait_dscnt 0x4
	v_add_f32_e32 v5, v5, v34
	v_add_f32_e32 v5, v5, v35
	s_wait_dscnt 0x3
	s_delay_alu instid0(VALU_DEP_1) | instskip(NEXT) | instid1(VALU_DEP_1)
	v_add_f32_e32 v5, v5, v6
	v_add_f32_e32 v5, v5, v7
	s_wait_dscnt 0x2
	s_delay_alu instid0(VALU_DEP_1) | instskip(NEXT) | instid1(VALU_DEP_1)
	v_add_f32_e32 v5, v5, v30
	v_add_f32_e32 v5, v5, v31
	s_wait_dscnt 0x1
	s_delay_alu instid0(VALU_DEP_1) | instskip(NEXT) | instid1(VALU_DEP_1)
	v_add_f32_e32 v5, v5, v32
	v_add_f32_e32 v5, v5, v33
	s_wait_dscnt 0x0
	s_delay_alu instid0(VALU_DEP_1)
	v_add_f32_e32 v6, v5, v29
.LBB29_22:                              ;   in Loop: Header=BB29_13 Depth=1
	s_or_b32 exec_lo, exec_lo, s17
	s_delay_alu instid0(SALU_CYCLE_1)
	s_and_b32 vcc_lo, exec_lo, s15
	s_cbranch_vccnz .LBB29_25
.LBB29_23:                              ;   in Loop: Header=BB29_13 Depth=1
	s_delay_alu instid0(VALU_DEP_1)
	v_mov_b32_e32 v4, v6
	s_and_saveexec_b32 s15, s14
	s_cbranch_execnz .LBB29_26
	s_branch .LBB29_27
.LBB29_24:                              ;   in Loop: Header=BB29_13 Depth=1
	s_mov_b32 s14, 0
                                        ; implicit-def: $vgpr6
	s_cbranch_execz .LBB29_23
.LBB29_25:                              ;   in Loop: Header=BB29_13 Depth=1
	s_and_not1_b32 s14, s14, exec_lo
	s_and_b32 s15, s1, exec_lo
	s_delay_alu instid0(SALU_CYCLE_1) | instskip(NEXT) | instid1(SALU_CYCLE_1)
	s_or_b32 s14, s14, s15
	s_and_saveexec_b32 s15, s14
.LBB29_26:                              ;   in Loop: Header=BB29_13 Depth=1
	ds_store_b32 v28, v4 offset:8192
.LBB29_27:                              ;   in Loop: Header=BB29_13 Depth=1
	s_or_b32 exec_lo, exec_lo, s15
	s_wait_dscnt 0x0
	s_barrier_signal -1
	s_barrier_wait -1
	s_and_saveexec_b32 s14, s2
	s_cbranch_execz .LBB29_12
; %bb.28:                               ;   in Loop: Header=BB29_13 Depth=1
	global_load_b32 v4, v28, s[10:11]
	ds_load_b32 v6, v28 offset:8192
	s_mov_b32 s15, 0
	s_wait_loadcnt 0x0
	v_xor_b32_e32 v7, 0x80000000, v4
	v_mov_b32_e32 v29, v9
	v_mov_b64_e32 v[4:5], v[2:3]
	s_wait_dscnt 0x0
	s_delay_alu instid0(VALU_DEP_3)
	v_mul_f32_e32 v30, v6, v7
	v_mov_b64_e32 v[6:7], v[0:1]
.LBB29_29:                              ;   Parent Loop BB29_13 Depth=1
                                        ; =>  This Inner Loop Header: Depth=2
	global_load_b32 v31, v[4:5], off
	ds_load_b32 v32, v29
	v_add_nc_u64_e32 v[6:7], 0x400, v[6:7]
	v_add_nc_u32_e32 v29, 0x1000, v29
	s_delay_alu instid0(VALU_DEP_2)
	v_cmp_le_i64_e32 vcc_lo, s[6:7], v[6:7]
	s_or_b32 s15, vcc_lo, s15
	s_wait_loadcnt_dscnt 0x0
	v_fmac_f32_e32 v31, v30, v32
	global_store_b32 v[4:5], v31, off
	s_wait_xcnt 0x0
	v_add_nc_u64_e32 v[4:5], s[12:13], v[4:5]
	s_and_not1_b32 exec_lo, exec_lo, s15
	s_cbranch_execnz .LBB29_29
	s_branch .LBB29_12
.LBB29_30:
	s_endpgm
	.section	.rodata,"a",@progbits
	.p2align	6, 0x0
	.amdhsa_kernel _ZN9rocsolver6v33100L23larf_right_kernel_smallILi1024EflPfEEvT1_S3_T2_lS3_lPKT0_lS4_lS3_l
		.amdhsa_group_segment_fixed_size 8320
		.amdhsa_private_segment_fixed_size 0
		.amdhsa_kernarg_size 96
		.amdhsa_user_sgpr_count 2
		.amdhsa_user_sgpr_dispatch_ptr 0
		.amdhsa_user_sgpr_queue_ptr 0
		.amdhsa_user_sgpr_kernarg_segment_ptr 1
		.amdhsa_user_sgpr_dispatch_id 0
		.amdhsa_user_sgpr_kernarg_preload_length 0
		.amdhsa_user_sgpr_kernarg_preload_offset 0
		.amdhsa_user_sgpr_private_segment_size 0
		.amdhsa_wavefront_size32 1
		.amdhsa_uses_dynamic_stack 0
		.amdhsa_enable_private_segment 0
		.amdhsa_system_sgpr_workgroup_id_x 1
		.amdhsa_system_sgpr_workgroup_id_y 1
		.amdhsa_system_sgpr_workgroup_id_z 0
		.amdhsa_system_sgpr_workgroup_info 0
		.amdhsa_system_vgpr_workitem_id 0
		.amdhsa_next_free_vgpr 36
		.amdhsa_next_free_sgpr 36
		.amdhsa_named_barrier_count 0
		.amdhsa_reserve_vcc 1
		.amdhsa_float_round_mode_32 0
		.amdhsa_float_round_mode_16_64 0
		.amdhsa_float_denorm_mode_32 3
		.amdhsa_float_denorm_mode_16_64 3
		.amdhsa_fp16_overflow 0
		.amdhsa_memory_ordered 1
		.amdhsa_forward_progress 1
		.amdhsa_inst_pref_size 15
		.amdhsa_round_robin_scheduling 0
		.amdhsa_exception_fp_ieee_invalid_op 0
		.amdhsa_exception_fp_denorm_src 0
		.amdhsa_exception_fp_ieee_div_zero 0
		.amdhsa_exception_fp_ieee_overflow 0
		.amdhsa_exception_fp_ieee_underflow 0
		.amdhsa_exception_fp_ieee_inexact 0
		.amdhsa_exception_int_div_zero 0
	.end_amdhsa_kernel
	.section	.text._ZN9rocsolver6v33100L23larf_right_kernel_smallILi1024EflPfEEvT1_S3_T2_lS3_lPKT0_lS4_lS3_l,"axG",@progbits,_ZN9rocsolver6v33100L23larf_right_kernel_smallILi1024EflPfEEvT1_S3_T2_lS3_lPKT0_lS4_lS3_l,comdat
.Lfunc_end29:
	.size	_ZN9rocsolver6v33100L23larf_right_kernel_smallILi1024EflPfEEvT1_S3_T2_lS3_lPKT0_lS4_lS3_l, .Lfunc_end29-_ZN9rocsolver6v33100L23larf_right_kernel_smallILi1024EflPfEEvT1_S3_T2_lS3_lPKT0_lS4_lS3_l
                                        ; -- End function
	.set _ZN9rocsolver6v33100L23larf_right_kernel_smallILi1024EflPfEEvT1_S3_T2_lS3_lPKT0_lS4_lS3_l.num_vgpr, 36
	.set _ZN9rocsolver6v33100L23larf_right_kernel_smallILi1024EflPfEEvT1_S3_T2_lS3_lPKT0_lS4_lS3_l.num_agpr, 0
	.set _ZN9rocsolver6v33100L23larf_right_kernel_smallILi1024EflPfEEvT1_S3_T2_lS3_lPKT0_lS4_lS3_l.numbered_sgpr, 36
	.set _ZN9rocsolver6v33100L23larf_right_kernel_smallILi1024EflPfEEvT1_S3_T2_lS3_lPKT0_lS4_lS3_l.num_named_barrier, 0
	.set _ZN9rocsolver6v33100L23larf_right_kernel_smallILi1024EflPfEEvT1_S3_T2_lS3_lPKT0_lS4_lS3_l.private_seg_size, 0
	.set _ZN9rocsolver6v33100L23larf_right_kernel_smallILi1024EflPfEEvT1_S3_T2_lS3_lPKT0_lS4_lS3_l.uses_vcc, 1
	.set _ZN9rocsolver6v33100L23larf_right_kernel_smallILi1024EflPfEEvT1_S3_T2_lS3_lPKT0_lS4_lS3_l.uses_flat_scratch, 0
	.set _ZN9rocsolver6v33100L23larf_right_kernel_smallILi1024EflPfEEvT1_S3_T2_lS3_lPKT0_lS4_lS3_l.has_dyn_sized_stack, 0
	.set _ZN9rocsolver6v33100L23larf_right_kernel_smallILi1024EflPfEEvT1_S3_T2_lS3_lPKT0_lS4_lS3_l.has_recursion, 0
	.set _ZN9rocsolver6v33100L23larf_right_kernel_smallILi1024EflPfEEvT1_S3_T2_lS3_lPKT0_lS4_lS3_l.has_indirect_call, 0
	.section	.AMDGPU.csdata,"",@progbits
; Kernel info:
; codeLenInByte = 1900
; TotalNumSgprs: 38
; NumVgprs: 36
; ScratchSize: 0
; MemoryBound: 0
; FloatMode: 240
; IeeeMode: 1
; LDSByteSize: 8320 bytes/workgroup (compile time only)
; SGPRBlocks: 0
; VGPRBlocks: 2
; NumSGPRsForWavesPerEU: 38
; NumVGPRsForWavesPerEU: 36
; NamedBarCnt: 0
; Occupancy: 16
; WaveLimiterHint : 0
; COMPUTE_PGM_RSRC2:SCRATCH_EN: 0
; COMPUTE_PGM_RSRC2:USER_SGPR: 2
; COMPUTE_PGM_RSRC2:TRAP_HANDLER: 0
; COMPUTE_PGM_RSRC2:TGID_X_EN: 1
; COMPUTE_PGM_RSRC2:TGID_Y_EN: 1
; COMPUTE_PGM_RSRC2:TGID_Z_EN: 0
; COMPUTE_PGM_RSRC2:TIDIG_COMP_CNT: 0
	.section	.text._ZN9rocsolver6v33100L22larf_left_kernel_smallILi64EflPKPfEEvT1_S5_T2_lS5_lPKT0_lS6_lS5_l,"axG",@progbits,_ZN9rocsolver6v33100L22larf_left_kernel_smallILi64EflPKPfEEvT1_S5_T2_lS5_lPKT0_lS6_lS5_l,comdat
	.globl	_ZN9rocsolver6v33100L22larf_left_kernel_smallILi64EflPKPfEEvT1_S5_T2_lS5_lPKT0_lS6_lS5_l ; -- Begin function _ZN9rocsolver6v33100L22larf_left_kernel_smallILi64EflPKPfEEvT1_S5_T2_lS5_lPKT0_lS6_lS5_l
	.p2align	8
	.type	_ZN9rocsolver6v33100L22larf_left_kernel_smallILi64EflPKPfEEvT1_S5_T2_lS5_lPKT0_lS6_lS5_l,@function
_ZN9rocsolver6v33100L22larf_left_kernel_smallILi64EflPKPfEEvT1_S5_T2_lS5_lPKT0_lS6_lS5_l: ; @_ZN9rocsolver6v33100L22larf_left_kernel_smallILi64EflPKPfEEvT1_S5_T2_lS5_lPKT0_lS6_lS5_l
; %bb.0:
	s_clause 0x2
	s_load_b64 s[6:7], s[0:1], 0x20
	s_load_b256 s[8:15], s[0:1], 0x0
	s_load_b256 s[16:23], s[0:1], 0x30
	s_bfe_u32 s2, ttmp6, 0x4000c
	s_and_b32 s4, ttmp6, 15
	s_add_co_i32 s2, s2, 1
	s_getreg_b32 s3, hwreg(HW_REG_IB_STS2, 6, 4)
	s_mul_i32 s2, ttmp9, s2
	s_mov_b32 s5, 0
	s_add_co_i32 s4, s4, s2
	s_cmp_eq_u32 s3, 0
	s_cselect_b32 s4, ttmp9, s4
	s_wait_kmcnt 0x0
	v_cmp_gt_i64_e64 s24, s[6:7], 0
	s_and_b32 vcc_lo, exec_lo, s24
	s_mov_b64 s[24:25], 0
	s_cbranch_vccnz .LBB30_2
; %bb.1:
	s_sub_nc_u64 s[24:25], 1, s[8:9]
	s_delay_alu instid0(SALU_CYCLE_1)
	s_mul_u64 s[24:25], s[6:7], s[24:25]
.LBB30_2:
	s_load_b64 s[20:21], s[20:21], s4 offset:0x0 scale_offset
	v_mov_b32_e32 v1, 0
	v_not_b32_e32 v2, v0
	s_delay_alu instid0(VALU_DEP_2)
	v_cmp_gt_i64_e64 s2, s[8:9], v[0:1]
	s_and_saveexec_b32 s30, s2
	s_cbranch_execz .LBB30_10
; %bb.3:
	s_load_b64 s[12:13], s[12:13], s4 offset:0x0 scale_offset
	v_mov_b32_e32 v3, -1
	v_mov_b64_e32 v[8:9], v[0:1]
	s_mov_b32 s26, -1
	s_mov_b32 s31, exec_lo
	s_delay_alu instid0(VALU_DEP_2) | instskip(NEXT) | instid1(VALU_DEP_1)
	v_add_nc_u64_e32 v[4:5], s[8:9], v[2:3]
	v_cmpx_lt_u64_e32 63, v[4:5]
	s_cbranch_execz .LBB30_7
; %bb.4:
	v_lshrrev_b64 v[4:5], 6, v[4:5]
	s_lshl_b64 s[26:27], s[14:15], 2
	s_lshl_b64 s[28:29], s[24:25], 2
	s_wait_kmcnt 0x0
	s_add_nc_u64 s[26:27], s[12:13], s[26:27]
	s_mov_b32 s33, 0
	s_add_nc_u64 s[26:27], s[26:27], s[28:29]
	s_mov_b32 s28, s6
	v_add_nc_u64_e32 v[4:5], 1, v[4:5]
	v_mov_b32_e32 v9, 0
	s_mov_b32 s29, s7
	s_delay_alu instid0(VALU_DEP_2) | instskip(NEXT) | instid1(VALU_DEP_3)
	v_dual_mov_b32 v7, v5 :: v_dual_bitop2_b32 v10, 64, v0 bitop3:0x54
	v_dual_mov_b32 v8, v0 :: v_dual_bitop2_b32 v6, -2, v4 bitop3:0x40
	s_delay_alu instid0(VALU_DEP_3) | instskip(NEXT) | instid1(VALU_DEP_2)
	v_mov_b32_e32 v11, v9
	v_mov_b64_e32 v[12:13], v[6:7]
.LBB30_5:                               ; =>This Inner Loop Header: Depth=1
	s_delay_alu instid0(VALU_DEP_3) | instskip(NEXT) | instid1(VALU_DEP_3)
	v_mul_u64_e32 v[14:15], s[6:7], v[8:9]
	v_mul_u64_e32 v[16:17], s[28:29], v[10:11]
	s_delay_alu instid0(VALU_DEP_3) | instskip(NEXT) | instid1(VALU_DEP_1)
	v_add_nc_u64_e32 v[12:13], -2, v[12:13]
	v_cmp_eq_u64_e32 vcc_lo, 0, v[12:13]
	s_or_b32 s33, vcc_lo, s33
	s_delay_alu instid0(VALU_DEP_4) | instskip(NEXT) | instid1(VALU_DEP_4)
	v_lshl_add_u64 v[14:15], v[14:15], 2, s[26:27]
	v_lshl_add_u64 v[16:17], v[16:17], 2, s[26:27]
	s_clause 0x1
	flat_load_b32 v3, v[14:15]
	flat_load_b32 v18, v[16:17]
	s_wait_xcnt 0x1
	v_dual_lshlrev_b32 v14, 2, v8 :: v_dual_lshlrev_b32 v15, 2, v10
	v_add_nc_u64_e32 v[10:11], 0x80, v[10:11]
	v_add_nc_u64_e32 v[8:9], 0x80, v[8:9]
	s_wait_loadcnt_dscnt 0x101
	ds_store_b32 v14, v3
	s_wait_loadcnt_dscnt 0x1
	ds_store_b32 v15, v18
	s_wait_xcnt 0x0
	s_and_not1_b32 exec_lo, exec_lo, s33
	s_cbranch_execnz .LBB30_5
; %bb.6:
	s_or_b32 exec_lo, exec_lo, s33
	v_lshlrev_b64_e32 v[8:9], 6, v[6:7]
	v_cmp_ne_u64_e32 vcc_lo, v[4:5], v[6:7]
	s_delay_alu instid0(VALU_DEP_2)
	v_or_b32_e32 v8, v8, v0
	s_or_not1_b32 s26, vcc_lo, exec_lo
.LBB30_7:
	s_or_b32 exec_lo, exec_lo, s31
	s_delay_alu instid0(SALU_CYCLE_1)
	s_and_b32 exec_lo, exec_lo, s26
	s_cbranch_execz .LBB30_10
; %bb.8:
	v_mul_u64_e32 v[4:5], s[6:7], v[8:9]
	s_lshl_b64 s[14:15], s[14:15], 2
	s_lshl_b64 s[24:25], s[24:25], 2
	s_wait_kmcnt 0x0
	s_add_nc_u64 s[12:13], s[12:13], s[14:15]
	v_lshlrev_b32_e32 v3, 2, v8
	s_add_nc_u64 s[12:13], s[12:13], s[24:25]
	s_lshl_b64 s[6:7], s[6:7], 8
	s_delay_alu instid0(VALU_DEP_2)
	v_lshl_add_u64 v[4:5], v[4:5], 2, s[12:13]
	s_mov_b32 s12, 0
.LBB30_9:                               ; =>This Inner Loop Header: Depth=1
	flat_load_b32 v6, v[4:5]
	v_add_nc_u64_e32 v[8:9], 64, v[8:9]
	s_wait_xcnt 0x0
	v_add_nc_u64_e32 v[4:5], s[6:7], v[4:5]
	s_delay_alu instid0(VALU_DEP_2)
	v_cmp_le_i64_e32 vcc_lo, s[8:9], v[8:9]
	s_or_b32 s12, vcc_lo, s12
	s_wait_loadcnt_dscnt 0x0
	ds_store_b32 v3, v6
	v_add_nc_u32_e32 v3, 0x100, v3
	s_and_not1_b32 exec_lo, exec_lo, s12
	s_cbranch_execnz .LBB30_9
.LBB30_10:
	s_or_b32 exec_lo, exec_lo, s30
	s_bfe_u32 s6, ttmp6, 0x40010
	s_bfe_u32 s7, ttmp6, 0x40004
	s_add_co_i32 s6, s6, 1
	s_wait_dscnt 0x0
	s_mul_i32 s6, ttmp7, s6
	s_barrier_signal -1
	s_add_co_i32 s6, s7, s6
	s_cmp_eq_u32 s3, 0
	s_mov_b32 s7, 0
	s_cselect_b32 s6, ttmp7, s6
	s_barrier_wait -1
	v_cmp_le_i64_e64 s3, s[10:11], s[6:7]
	s_and_b32 vcc_lo, exec_lo, s3
	s_cbranch_vccnz .LBB30_39
; %bb.11:
	v_mov_b32_e32 v3, -1
	s_load_b64 s[26:27], s[0:1], 0x50
	s_wait_xcnt 0x0
	s_mul_u64 s[4:5], s[18:19], s[4:5]
	s_mov_b64 s[14:15], 0x3fffffffffffffff
	s_lshl_b64 s[4:5], s[4:5], 2
	v_add_nc_u64_e32 v[6:7], s[8:9], v[2:3]
	v_dual_mov_b32 v3, 0 :: v_dual_lshlrev_b32 v10, 2, v0
	s_cmp_gt_i32 s8, 1
	s_wait_kmcnt 0x0
	s_add_nc_u64 s[12:13], s[16:17], s[4:5]
	s_cselect_b32 s24, -1, 0
	s_lshl_b64 s[16:17], s[22:23], 2
	v_lshrrev_b64 v[8:9], 6, v[6:7]
	v_cmp_lt_u64_e32 vcc_lo, s[14:15], v[6:7]
	v_lshlrev_b64_e32 v[14:15], 2, v[6:7]
	v_and_b32_e32 v2, 31, v0
	v_mbcnt_lo_u32_b32 v33, -1, 0
	v_cmp_gt_u64_e64 s25, 0xc0, v[6:7]
	v_cmp_lt_u64_e64 s4, 0xbf, v[6:7]
	v_add_nc_u64_e32 v[8:9], 1, v[8:9]
	v_mov_b32_e32 v11, v3
	s_mul_u64 s[18:19], s[26:27], s[6:7]
	v_cmp_gt_i32_e64 s0, s8, v0
	s_add_nc_u64 s[22:23], s[18:19], s[22:23]
	s_lshl_b64 s[18:19], s[18:19], 2
	v_add_nc_u64_e32 v[20:21], s[22:23], v[0:1]
	v_dual_mov_b32 v13, v9 :: v_dual_bitop2_b32 v12, -2, v8 bitop3:0x40
	s_add_nc_u64 s[16:17], s[18:19], s[16:17]
	v_dual_lshrrev_b32 v32, 3, v0 :: v_dual_bitop2_b32 v4, 64, v0 bitop3:0x54
	s_add_nc_u64 s[14:15], s[20:21], s[16:17]
	s_delay_alu instid0(VALU_DEP_2)
	v_lshlrev_b64_e32 v[16:17], 6, v[12:13]
	v_add_nc_u64_e32 v[18:19], s[14:15], v[10:11]
	v_cmp_eq_u32_e64 s1, 0, v0
	v_cmp_eq_u32_e64 s3, 0, v2
	v_and_b32_e32 v14, 0xffffff00, v14
	v_lshl_add_u64 v[20:21], v[20:21], 2, s[20:21]
	v_dual_mov_b32 v2, v0 :: v_dual_mov_b32 v5, v3
	v_or_b32_e32 v16, v16, v0
	v_cmp_ne_u64_e64 s5, v[8:9], v[12:13]
	v_add_nc_u64_e32 v[22:23], 0x100, v[18:19]
	v_lshlrev_b32_e32 v34, 2, v0
	v_lshl_or_b32 v35, v33, 2, 64
	v_lshlrev_b64_e32 v[24:25], 2, v[16:17]
	s_lshl_b64 s[16:17], s[26:27], 8
	s_mov_b64 s[18:19], 0
	s_xor_b32 s20, vcc_lo, -1
	s_branch .LBB30_13
.LBB30_12:                              ;   in Loop: Header=BB30_13 Depth=1
	s_or_b32 exec_lo, exec_lo, s21
	s_add_nc_u64 s[6:7], s[6:7], 64
	v_add_nc_u64_e32 v[18:19], s[16:17], v[18:19]
	v_cmp_ge_i64_e64 s21, s[6:7], s[10:11]
	v_add_nc_u64_e32 v[22:23], s[16:17], v[22:23]
	s_add_nc_u64 s[18:19], s[18:19], 1
	s_add_nc_u64 s[14:15], s[14:15], s[16:17]
	s_and_b32 vcc_lo, exec_lo, s21
	s_cbranch_vccnz .LBB30_39
.LBB30_13:                              ; =>This Loop Header: Depth=1
                                        ;     Child Loop BB30_15 Depth 2
                                        ;     Child Loop BB30_31 Depth 2
	;; [unrolled: 1-line block ×3, first 2 shown]
	v_mov_b32_e32 v8, 0
	s_and_saveexec_b32 s21, s0
	s_cbranch_execz .LBB30_17
; %bb.14:                               ;   in Loop: Header=BB30_13 Depth=1
	v_mov_b64_e32 v[6:7], v[18:19]
	v_dual_mov_b32 v8, 0 :: v_dual_mov_b32 v9, v34
	v_mov_b32_e32 v26, v0
	s_mov_b32 s22, 0
.LBB30_15:                              ;   Parent Loop BB30_13 Depth=1
                                        ; =>  This Inner Loop Header: Depth=2
	flat_load_b32 v27, v[6:7]
	ds_load_b32 v28, v9
	v_add_nc_u32_e32 v26, 64, v26
	s_wait_xcnt 0x0
	v_add_nc_u64_e32 v[6:7], 0x100, v[6:7]
	s_wait_loadcnt_dscnt 0x0
	v_dual_fmac_f32 v8, v28, v27 :: v_dual_add_nc_u32 v9, 0x100, v9
	v_cmp_le_i32_e32 vcc_lo, s8, v26
	s_or_b32 s22, vcc_lo, s22
	s_delay_alu instid0(SALU_CYCLE_1)
	s_and_not1_b32 exec_lo, exec_lo, s22
	s_cbranch_execnz .LBB30_15
; %bb.16:                               ;   in Loop: Header=BB30_13 Depth=1
	s_or_b32 exec_lo, exec_lo, s22
.LBB30_17:                              ;   in Loop: Header=BB30_13 Depth=1
	s_delay_alu instid0(SALU_CYCLE_1) | instskip(NEXT) | instid1(SALU_CYCLE_1)
	s_or_b32 exec_lo, exec_lo, s21
	s_and_b32 vcc_lo, exec_lo, s24
	s_cbranch_vccz .LBB30_24
; %bb.18:                               ;   in Loop: Header=BB30_13 Depth=1
	v_cmp_ne_u32_e32 vcc_lo, 31, v33
	v_add_co_ci_u32_e64 v6, null, 0, v33, vcc_lo
	v_cmp_gt_u32_e32 vcc_lo, 30, v33
	s_delay_alu instid0(VALU_DEP_2)
	v_lshlrev_b32_e32 v6, 2, v6
	v_cndmask_b32_e64 v7, 0, 2, vcc_lo
	v_cmp_gt_u32_e32 vcc_lo, 28, v33
	ds_bpermute_b32 v6, v6, v8
	v_add_lshl_u32 v7, v7, v33, 2
	v_cndmask_b32_e64 v9, 0, 4, vcc_lo
	v_cmp_gt_u32_e32 vcc_lo, 24, v33
	s_delay_alu instid0(VALU_DEP_2)
	v_add_lshl_u32 v9, v9, v33, 2
	s_wait_dscnt 0x0
	v_add_f32_e32 v6, v8, v6
	ds_bpermute_b32 v7, v7, v6
	s_wait_dscnt 0x0
	v_add_f32_e32 v6, v6, v7
	ds_bpermute_b32 v7, v9, v6
	v_cndmask_b32_e64 v9, 0, 8, vcc_lo
	s_wait_dscnt 0x0
	v_add_f32_e32 v6, v6, v7
	s_delay_alu instid0(VALU_DEP_2)
	v_add_lshl_u32 v7, v9, v33, 2
	ds_bpermute_b32 v7, v7, v6
	s_wait_dscnt 0x0
	v_add_f32_e32 v6, v6, v7
	ds_bpermute_b32 v7, v35, v6
	s_wait_dscnt 0x0
	v_add_f32_e32 v7, v6, v7
	s_and_saveexec_b32 s21, s3
; %bb.19:                               ;   in Loop: Header=BB30_13 Depth=1
	ds_store_b32 v32, v7 offset:8192
; %bb.20:                               ;   in Loop: Header=BB30_13 Depth=1
	s_or_b32 exec_lo, exec_lo, s21
	s_mov_b32 s22, 0
	s_mov_b32 s21, 0
	s_wait_dscnt 0x0
	s_barrier_signal -1
	s_barrier_wait -1
                                        ; implicit-def: $vgpr6
	s_and_saveexec_b32 s23, s1
	s_delay_alu instid0(SALU_CYCLE_1)
	s_xor_b32 s23, exec_lo, s23
	s_cbranch_execz .LBB30_22
; %bb.21:                               ;   in Loop: Header=BB30_13 Depth=1
	ds_load_b32 v6, v3 offset:8196
	s_mov_b32 s21, exec_lo
	s_wait_dscnt 0x0
	v_add_f32_e32 v6, v7, v6
.LBB30_22:                              ;   in Loop: Header=BB30_13 Depth=1
	s_or_b32 exec_lo, exec_lo, s23
	s_delay_alu instid0(SALU_CYCLE_1)
	s_and_b32 vcc_lo, exec_lo, s22
	s_cbranch_vccnz .LBB30_25
.LBB30_23:                              ;   in Loop: Header=BB30_13 Depth=1
	s_delay_alu instid0(VALU_DEP_1)
	v_mov_b32_e32 v8, v6
	s_and_saveexec_b32 s22, s21
	s_cbranch_execnz .LBB30_26
	s_branch .LBB30_27
.LBB30_24:                              ;   in Loop: Header=BB30_13 Depth=1
	s_mov_b32 s21, 0
                                        ; implicit-def: $vgpr6
	s_cbranch_execz .LBB30_23
.LBB30_25:                              ;   in Loop: Header=BB30_13 Depth=1
	s_and_not1_b32 s21, s21, exec_lo
	s_and_b32 s22, s1, exec_lo
	s_delay_alu instid0(SALU_CYCLE_1) | instskip(NEXT) | instid1(SALU_CYCLE_1)
	s_or_b32 s21, s21, s22
	s_and_saveexec_b32 s22, s21
.LBB30_26:                              ;   in Loop: Header=BB30_13 Depth=1
	ds_store_b32 v3, v8 offset:8192
.LBB30_27:                              ;   in Loop: Header=BB30_13 Depth=1
	s_or_b32 exec_lo, exec_lo, s22
	s_wait_dscnt 0x0
	s_barrier_signal -1
	s_barrier_wait -1
	s_and_saveexec_b32 s21, s2
	s_cbranch_execz .LBB30_12
; %bb.28:                               ;   in Loop: Header=BB30_13 Depth=1
	global_load_b32 v6, v3, s[12:13]
	ds_load_b32 v8, v3 offset:8192
	s_mov_b32 s23, s25
	s_wait_loadcnt 0x0
	v_xor_b32_e32 v9, 0x80000000, v6
	v_mov_b64_e32 v[6:7], v[0:1]
	s_wait_dscnt 0x0
	s_delay_alu instid0(VALU_DEP_2)
	v_mul_f32_e32 v26, v8, v9
	v_mov_b64_e32 v[8:9], v[10:11]
	s_wait_xcnt 0x0
	s_and_saveexec_b32 s22, s4
	s_cbranch_execz .LBB30_36
; %bb.29:                               ;   in Loop: Header=BB30_13 Depth=1
	v_mad_nc_u64_u32 v[6:7], s16, s18, v[20:21]
	s_mul_i32 s23, s17, s18
	s_mul_i32 s26, s16, s19
	s_delay_alu instid0(VALU_DEP_1) | instid1(SALU_CYCLE_1)
	v_add3_u32 v7, s26, s23, v7
	s_mov_b32 s26, -1
	s_delay_alu instid0(VALU_DEP_1) | instskip(NEXT) | instid1(VALU_DEP_1)
	v_add_nc_u64_e32 v[8:9], v[6:7], v[14:15]
	v_cmp_ge_u64_e32 vcc_lo, v[8:9], v[6:7]
	v_mov_b64_e32 v[6:7], v[0:1]
	v_mov_b64_e32 v[8:9], v[10:11]
	s_and_b32 s27, vcc_lo, s20
	s_delay_alu instid0(SALU_CYCLE_1)
	s_and_saveexec_b32 s23, s27
	s_cbranch_execz .LBB30_35
; %bb.30:                               ;   in Loop: Header=BB30_13 Depth=1
	v_mov_b64_e32 v[8:9], v[4:5]
	v_mov_b64_e32 v[28:29], v[12:13]
	;; [unrolled: 1-line block ×4, first 2 shown]
	v_mov_b32_e32 v27, v26
	s_mov_b32 s26, 0
.LBB30_31:                              ;   Parent Loop BB30_13 Depth=1
                                        ; =>  This Inner Loop Header: Depth=2
	s_clause 0x1
	flat_load_b32 v36, v[30:31] offset:-256
	flat_load_b32 v37, v[30:31]
	v_dual_lshlrev_b32 v38, 2, v6 :: v_dual_lshlrev_b32 v39, 2, v8
	v_add_nc_u64_e32 v[28:29], -2, v[28:29]
	v_add_nc_u64_e32 v[8:9], 0x80, v[8:9]
	ds_load_b32 v38, v38
	ds_load_b32 v39, v39
	v_add_nc_u64_e32 v[6:7], 0x80, v[6:7]
	v_cmp_eq_u64_e32 vcc_lo, 0, v[28:29]
	s_or_b32 s26, vcc_lo, s26
	s_wait_loadcnt_dscnt 0x0
	v_pk_fma_f32 v[36:37], v[26:27], v[38:39], v[36:37]
	s_clause 0x1
	flat_store_b32 v[30:31], v36 offset:-256
	flat_store_b32 v[30:31], v37
	s_wait_xcnt 0x0
	v_add_nc_u64_e32 v[30:31], 0x200, v[30:31]
	s_and_not1_b32 exec_lo, exec_lo, s26
	s_cbranch_execnz .LBB30_31
; %bb.32:                               ;   in Loop: Header=BB30_13 Depth=1
	s_or_b32 exec_lo, exec_lo, s26
	s_mov_b32 s26, 0
	s_and_saveexec_b32 s27, s5
; %bb.33:                               ;   in Loop: Header=BB30_13 Depth=1
	s_mov_b32 s26, exec_lo
; %bb.34:                               ;   in Loop: Header=BB30_13 Depth=1
	s_or_b32 exec_lo, exec_lo, s27
	v_mov_b64_e32 v[6:7], v[16:17]
	v_mov_b64_e32 v[8:9], v[24:25]
	s_or_not1_b32 s26, s26, exec_lo
.LBB30_35:                              ;   in Loop: Header=BB30_13 Depth=1
	s_or_b32 exec_lo, exec_lo, s23
	s_delay_alu instid0(SALU_CYCLE_1) | instskip(SKIP_1) | instid1(SALU_CYCLE_1)
	s_and_not1_b32 s23, s25, exec_lo
	s_and_b32 s26, s26, exec_lo
	s_or_b32 s23, s23, s26
.LBB30_36:                              ;   in Loop: Header=BB30_13 Depth=1
	s_or_b32 exec_lo, exec_lo, s22
	s_delay_alu instid0(SALU_CYCLE_1)
	s_and_b32 exec_lo, exec_lo, s23
	s_cbranch_execz .LBB30_12
; %bb.37:                               ;   in Loop: Header=BB30_13 Depth=1
	v_add_nc_u64_e32 v[8:9], s[14:15], v[8:9]
	v_lshlrev_b32_e32 v27, 2, v6
	s_mov_b32 s22, 0
.LBB30_38:                              ;   Parent Loop BB30_13 Depth=1
                                        ; =>  This Inner Loop Header: Depth=2
	flat_load_b32 v28, v[8:9]
	ds_load_b32 v29, v27
	v_add_nc_u64_e32 v[6:7], 64, v[6:7]
	v_add_nc_u32_e32 v27, 0x100, v27
	s_delay_alu instid0(VALU_DEP_2)
	v_cmp_le_i64_e32 vcc_lo, s[8:9], v[6:7]
	s_or_b32 s22, vcc_lo, s22
	s_wait_loadcnt_dscnt 0x0
	v_fmac_f32_e32 v28, v26, v29
	flat_store_b32 v[8:9], v28
	s_wait_xcnt 0x0
	v_add_nc_u64_e32 v[8:9], 0x100, v[8:9]
	s_and_not1_b32 exec_lo, exec_lo, s22
	s_cbranch_execnz .LBB30_38
	s_branch .LBB30_12
.LBB30_39:
	s_endpgm
	.section	.rodata,"a",@progbits
	.p2align	6, 0x0
	.amdhsa_kernel _ZN9rocsolver6v33100L22larf_left_kernel_smallILi64EflPKPfEEvT1_S5_T2_lS5_lPKT0_lS6_lS5_l
		.amdhsa_group_segment_fixed_size 8448
		.amdhsa_private_segment_fixed_size 0
		.amdhsa_kernarg_size 96
		.amdhsa_user_sgpr_count 2
		.amdhsa_user_sgpr_dispatch_ptr 0
		.amdhsa_user_sgpr_queue_ptr 0
		.amdhsa_user_sgpr_kernarg_segment_ptr 1
		.amdhsa_user_sgpr_dispatch_id 0
		.amdhsa_user_sgpr_kernarg_preload_length 0
		.amdhsa_user_sgpr_kernarg_preload_offset 0
		.amdhsa_user_sgpr_private_segment_size 0
		.amdhsa_wavefront_size32 1
		.amdhsa_uses_dynamic_stack 0
		.amdhsa_enable_private_segment 0
		.amdhsa_system_sgpr_workgroup_id_x 1
		.amdhsa_system_sgpr_workgroup_id_y 1
		.amdhsa_system_sgpr_workgroup_id_z 0
		.amdhsa_system_sgpr_workgroup_info 0
		.amdhsa_system_vgpr_workitem_id 0
		.amdhsa_next_free_vgpr 81
		.amdhsa_next_free_sgpr 34
		.amdhsa_named_barrier_count 0
		.amdhsa_reserve_vcc 1
		.amdhsa_float_round_mode_32 0
		.amdhsa_float_round_mode_16_64 0
		.amdhsa_float_denorm_mode_32 3
		.amdhsa_float_denorm_mode_16_64 3
		.amdhsa_fp16_overflow 0
		.amdhsa_memory_ordered 1
		.amdhsa_forward_progress 1
		.amdhsa_inst_pref_size 15
		.amdhsa_round_robin_scheduling 0
		.amdhsa_exception_fp_ieee_invalid_op 0
		.amdhsa_exception_fp_denorm_src 0
		.amdhsa_exception_fp_ieee_div_zero 0
		.amdhsa_exception_fp_ieee_overflow 0
		.amdhsa_exception_fp_ieee_underflow 0
		.amdhsa_exception_fp_ieee_inexact 0
		.amdhsa_exception_int_div_zero 0
	.end_amdhsa_kernel
	.section	.text._ZN9rocsolver6v33100L22larf_left_kernel_smallILi64EflPKPfEEvT1_S5_T2_lS5_lPKT0_lS6_lS5_l,"axG",@progbits,_ZN9rocsolver6v33100L22larf_left_kernel_smallILi64EflPKPfEEvT1_S5_T2_lS5_lPKT0_lS6_lS5_l,comdat
.Lfunc_end30:
	.size	_ZN9rocsolver6v33100L22larf_left_kernel_smallILi64EflPKPfEEvT1_S5_T2_lS5_lPKT0_lS6_lS5_l, .Lfunc_end30-_ZN9rocsolver6v33100L22larf_left_kernel_smallILi64EflPKPfEEvT1_S5_T2_lS5_lPKT0_lS6_lS5_l
                                        ; -- End function
	.set _ZN9rocsolver6v33100L22larf_left_kernel_smallILi64EflPKPfEEvT1_S5_T2_lS5_lPKT0_lS6_lS5_l.num_vgpr, 40
	.set _ZN9rocsolver6v33100L22larf_left_kernel_smallILi64EflPKPfEEvT1_S5_T2_lS5_lPKT0_lS6_lS5_l.num_agpr, 0
	.set _ZN9rocsolver6v33100L22larf_left_kernel_smallILi64EflPKPfEEvT1_S5_T2_lS5_lPKT0_lS6_lS5_l.numbered_sgpr, 34
	.set _ZN9rocsolver6v33100L22larf_left_kernel_smallILi64EflPKPfEEvT1_S5_T2_lS5_lPKT0_lS6_lS5_l.num_named_barrier, 0
	.set _ZN9rocsolver6v33100L22larf_left_kernel_smallILi64EflPKPfEEvT1_S5_T2_lS5_lPKT0_lS6_lS5_l.private_seg_size, 0
	.set _ZN9rocsolver6v33100L22larf_left_kernel_smallILi64EflPKPfEEvT1_S5_T2_lS5_lPKT0_lS6_lS5_l.uses_vcc, 1
	.set _ZN9rocsolver6v33100L22larf_left_kernel_smallILi64EflPKPfEEvT1_S5_T2_lS5_lPKT0_lS6_lS5_l.uses_flat_scratch, 1
	.set _ZN9rocsolver6v33100L22larf_left_kernel_smallILi64EflPKPfEEvT1_S5_T2_lS5_lPKT0_lS6_lS5_l.has_dyn_sized_stack, 0
	.set _ZN9rocsolver6v33100L22larf_left_kernel_smallILi64EflPKPfEEvT1_S5_T2_lS5_lPKT0_lS6_lS5_l.has_recursion, 0
	.set _ZN9rocsolver6v33100L22larf_left_kernel_smallILi64EflPKPfEEvT1_S5_T2_lS5_lPKT0_lS6_lS5_l.has_indirect_call, 0
	.section	.AMDGPU.csdata,"",@progbits
; Kernel info:
; codeLenInByte = 1900
; TotalNumSgprs: 36
; NumVgprs: 40
; ScratchSize: 0
; MemoryBound: 0
; FloatMode: 240
; IeeeMode: 1
; LDSByteSize: 8448 bytes/workgroup (compile time only)
; SGPRBlocks: 0
; VGPRBlocks: 5
; NumSGPRsForWavesPerEU: 36
; NumVGPRsForWavesPerEU: 81
; NamedBarCnt: 0
; Occupancy: 10
; WaveLimiterHint : 1
; COMPUTE_PGM_RSRC2:SCRATCH_EN: 0
; COMPUTE_PGM_RSRC2:USER_SGPR: 2
; COMPUTE_PGM_RSRC2:TRAP_HANDLER: 0
; COMPUTE_PGM_RSRC2:TGID_X_EN: 1
; COMPUTE_PGM_RSRC2:TGID_Y_EN: 1
; COMPUTE_PGM_RSRC2:TGID_Z_EN: 0
; COMPUTE_PGM_RSRC2:TIDIG_COMP_CNT: 0
	.section	.text._ZN9rocsolver6v33100L22larf_left_kernel_smallILi128EflPKPfEEvT1_S5_T2_lS5_lPKT0_lS6_lS5_l,"axG",@progbits,_ZN9rocsolver6v33100L22larf_left_kernel_smallILi128EflPKPfEEvT1_S5_T2_lS5_lPKT0_lS6_lS5_l,comdat
	.globl	_ZN9rocsolver6v33100L22larf_left_kernel_smallILi128EflPKPfEEvT1_S5_T2_lS5_lPKT0_lS6_lS5_l ; -- Begin function _ZN9rocsolver6v33100L22larf_left_kernel_smallILi128EflPKPfEEvT1_S5_T2_lS5_lPKT0_lS6_lS5_l
	.p2align	8
	.type	_ZN9rocsolver6v33100L22larf_left_kernel_smallILi128EflPKPfEEvT1_S5_T2_lS5_lPKT0_lS6_lS5_l,@function
_ZN9rocsolver6v33100L22larf_left_kernel_smallILi128EflPKPfEEvT1_S5_T2_lS5_lPKT0_lS6_lS5_l: ; @_ZN9rocsolver6v33100L22larf_left_kernel_smallILi128EflPKPfEEvT1_S5_T2_lS5_lPKT0_lS6_lS5_l
; %bb.0:
	s_clause 0x2
	s_load_b64 s[6:7], s[0:1], 0x20
	s_load_b256 s[8:15], s[0:1], 0x0
	s_load_b256 s[16:23], s[0:1], 0x30
	s_bfe_u32 s2, ttmp6, 0x4000c
	s_and_b32 s4, ttmp6, 15
	s_add_co_i32 s2, s2, 1
	s_getreg_b32 s3, hwreg(HW_REG_IB_STS2, 6, 4)
	s_mul_i32 s2, ttmp9, s2
	s_mov_b32 s5, 0
	s_add_co_i32 s4, s4, s2
	s_cmp_eq_u32 s3, 0
	s_cselect_b32 s4, ttmp9, s4
	s_wait_kmcnt 0x0
	v_cmp_gt_i64_e64 s24, s[6:7], 0
	s_and_b32 vcc_lo, exec_lo, s24
	s_mov_b64 s[24:25], 0
	s_cbranch_vccnz .LBB31_2
; %bb.1:
	s_sub_nc_u64 s[24:25], 1, s[8:9]
	s_delay_alu instid0(SALU_CYCLE_1)
	s_mul_u64 s[24:25], s[6:7], s[24:25]
.LBB31_2:
	s_load_b64 s[20:21], s[20:21], s4 offset:0x0 scale_offset
	v_mov_b32_e32 v1, 0
	v_not_b32_e32 v2, v0
	s_delay_alu instid0(VALU_DEP_2)
	v_cmp_gt_i64_e64 s2, s[8:9], v[0:1]
	s_and_saveexec_b32 s30, s2
	s_cbranch_execz .LBB31_10
; %bb.3:
	s_load_b64 s[12:13], s[12:13], s4 offset:0x0 scale_offset
	v_mov_b32_e32 v3, -1
	v_mov_b64_e32 v[8:9], v[0:1]
	s_mov_b32 s26, -1
	s_mov_b32 s31, exec_lo
	s_delay_alu instid0(VALU_DEP_2) | instskip(NEXT) | instid1(VALU_DEP_1)
	v_add_nc_u64_e32 v[4:5], s[8:9], v[2:3]
	v_cmpx_lt_u64_e32 0x7f, v[4:5]
	s_cbranch_execz .LBB31_7
; %bb.4:
	v_lshrrev_b64 v[4:5], 7, v[4:5]
	s_lshl_b64 s[26:27], s[14:15], 2
	v_or_b32_e32 v10, 0x80, v0
	s_lshl_b64 s[28:29], s[24:25], 2
	s_wait_kmcnt 0x0
	s_add_nc_u64 s[26:27], s[12:13], s[26:27]
	s_mov_b32 s33, 0
	s_add_nc_u64 s[26:27], s[26:27], s[28:29]
	v_add_nc_u64_e32 v[4:5], 1, v[4:5]
	v_mov_b32_e32 v9, 0
	s_mov_b32 s28, s6
	s_mov_b32 s29, s7
	s_delay_alu instid0(VALU_DEP_2) | instskip(NEXT) | instid1(VALU_DEP_2)
	v_dual_mov_b32 v8, v0 :: v_dual_mov_b32 v7, v5
	v_dual_mov_b32 v11, v9 :: v_dual_bitop2_b32 v6, -2, v4 bitop3:0x40
	s_delay_alu instid0(VALU_DEP_1)
	v_mov_b64_e32 v[12:13], v[6:7]
.LBB31_5:                               ; =>This Inner Loop Header: Depth=1
	s_delay_alu instid0(VALU_DEP_3) | instskip(NEXT) | instid1(VALU_DEP_3)
	v_mul_u64_e32 v[14:15], s[6:7], v[8:9]
	v_mul_u64_e32 v[16:17], s[28:29], v[10:11]
	s_delay_alu instid0(VALU_DEP_3) | instskip(NEXT) | instid1(VALU_DEP_1)
	v_add_nc_u64_e32 v[12:13], -2, v[12:13]
	v_cmp_eq_u64_e32 vcc_lo, 0, v[12:13]
	s_or_b32 s33, vcc_lo, s33
	s_delay_alu instid0(VALU_DEP_4) | instskip(NEXT) | instid1(VALU_DEP_4)
	v_lshl_add_u64 v[14:15], v[14:15], 2, s[26:27]
	v_lshl_add_u64 v[16:17], v[16:17], 2, s[26:27]
	s_clause 0x1
	flat_load_b32 v3, v[14:15]
	flat_load_b32 v18, v[16:17]
	s_wait_xcnt 0x1
	v_dual_lshlrev_b32 v14, 2, v8 :: v_dual_lshlrev_b32 v15, 2, v10
	v_add_nc_u64_e32 v[10:11], 0x100, v[10:11]
	v_add_nc_u64_e32 v[8:9], 0x100, v[8:9]
	s_wait_loadcnt_dscnt 0x101
	ds_store_b32 v14, v3
	s_wait_loadcnt_dscnt 0x1
	ds_store_b32 v15, v18
	s_wait_xcnt 0x0
	s_and_not1_b32 exec_lo, exec_lo, s33
	s_cbranch_execnz .LBB31_5
; %bb.6:
	s_or_b32 exec_lo, exec_lo, s33
	v_lshlrev_b64_e32 v[8:9], 7, v[6:7]
	v_cmp_ne_u64_e32 vcc_lo, v[4:5], v[6:7]
	s_delay_alu instid0(VALU_DEP_2)
	v_or_b32_e32 v8, v8, v0
	s_or_not1_b32 s26, vcc_lo, exec_lo
.LBB31_7:
	s_or_b32 exec_lo, exec_lo, s31
	s_delay_alu instid0(SALU_CYCLE_1)
	s_and_b32 exec_lo, exec_lo, s26
	s_cbranch_execz .LBB31_10
; %bb.8:
	v_mul_u64_e32 v[4:5], s[6:7], v[8:9]
	s_lshl_b64 s[14:15], s[14:15], 2
	s_lshl_b64 s[24:25], s[24:25], 2
	s_wait_kmcnt 0x0
	s_add_nc_u64 s[12:13], s[12:13], s[14:15]
	v_lshlrev_b32_e32 v3, 2, v8
	s_add_nc_u64 s[12:13], s[12:13], s[24:25]
	s_lshl_b64 s[6:7], s[6:7], 9
	s_delay_alu instid0(VALU_DEP_2)
	v_lshl_add_u64 v[4:5], v[4:5], 2, s[12:13]
	s_mov_b32 s12, 0
.LBB31_9:                               ; =>This Inner Loop Header: Depth=1
	flat_load_b32 v6, v[4:5]
	v_add_nc_u64_e32 v[8:9], 0x80, v[8:9]
	s_wait_xcnt 0x0
	v_add_nc_u64_e32 v[4:5], s[6:7], v[4:5]
	s_delay_alu instid0(VALU_DEP_2)
	v_cmp_le_i64_e32 vcc_lo, s[8:9], v[8:9]
	s_or_b32 s12, vcc_lo, s12
	s_wait_loadcnt_dscnt 0x0
	ds_store_b32 v3, v6
	v_add_nc_u32_e32 v3, 0x200, v3
	s_and_not1_b32 exec_lo, exec_lo, s12
	s_cbranch_execnz .LBB31_9
.LBB31_10:
	s_or_b32 exec_lo, exec_lo, s30
	s_bfe_u32 s6, ttmp6, 0x40010
	s_bfe_u32 s7, ttmp6, 0x40004
	s_add_co_i32 s6, s6, 1
	s_wait_dscnt 0x0
	s_mul_i32 s6, ttmp7, s6
	s_barrier_signal -1
	s_add_co_i32 s6, s7, s6
	s_cmp_eq_u32 s3, 0
	s_mov_b32 s7, 0
	s_cselect_b32 s6, ttmp7, s6
	s_barrier_wait -1
	v_cmp_le_i64_e64 s3, s[10:11], s[6:7]
	s_and_b32 vcc_lo, exec_lo, s3
	s_cbranch_vccnz .LBB31_39
; %bb.11:
	v_mov_b32_e32 v3, -1
	s_load_b64 s[26:27], s[0:1], 0x50
	s_wait_xcnt 0x0
	s_mul_u64 s[4:5], s[18:19], s[4:5]
	v_lshrrev_b32_e32 v32, 3, v0
	s_lshl_b64 s[4:5], s[4:5], 2
	v_add_nc_u64_e32 v[6:7], s[8:9], v[2:3]
	v_mov_b32_e32 v3, 0
	s_cmp_gt_i32 s8, 1
	s_wait_kmcnt 0x0
	s_add_nc_u64 s[12:13], s[16:17], s[4:5]
	s_cselect_b32 s24, -1, 0
	s_lshl_b64 s[16:17], s[22:23], 2
	v_dual_mov_b32 v11, v3 :: v_dual_lshlrev_b32 v10, 2, v0
	v_lshrrev_b64 v[8:9], 7, v[6:7]
	s_mov_b64 s[14:15], 0x3fffffffffffffff
	v_lshlrev_b64_e32 v[14:15], 2, v[6:7]
	v_cmp_lt_u64_e32 vcc_lo, s[14:15], v[6:7]
	v_and_b32_e32 v2, 31, v0
	v_mbcnt_lo_u32_b32 v33, -1, 0
	v_cmp_gt_u64_e64 s25, 0x180, v[6:7]
	v_add_nc_u64_e32 v[8:9], 1, v[8:9]
	s_mul_u64 s[18:19], s[26:27], s[6:7]
	v_cmp_lt_u64_e64 s4, 0x17f, v[6:7]
	s_add_nc_u64 s[22:23], s[18:19], s[22:23]
	s_lshl_b64 s[18:19], s[18:19], 2
	v_add_nc_u64_e32 v[20:21], s[22:23], v[0:1]
	s_add_nc_u64 s[16:17], s[18:19], s[16:17]
	v_dual_mov_b32 v13, v9 :: v_dual_bitop2_b32 v12, -2, v8 bitop3:0x40
	s_add_nc_u64 s[14:15], s[20:21], s[16:17]
	v_cmp_gt_i32_e64 s0, s8, v0
	v_add_nc_u64_e32 v[18:19], s[14:15], v[10:11]
	v_cmp_eq_u32_e64 s1, 0, v0
	v_lshlrev_b64_e32 v[16:17], 7, v[12:13]
	v_cmp_ne_u64_e64 s5, v[8:9], v[12:13]
	v_or_b32_e32 v4, 0x80, v0
	v_cmp_eq_u32_e64 s3, 0, v2
	v_and_b32_e32 v14, 0xfffffe00, v14
	v_mov_b32_e32 v5, v3
	v_add_nc_u64_e32 v[22:23], 0x200, v[18:19]
	v_or_b32_e32 v16, v16, v0
	v_lshl_add_u64 v[20:21], v[20:21], 2, s[20:21]
	v_dual_mov_b32 v2, v0 :: v_dual_lshlrev_b32 v34, 2, v0
	v_lshl_or_b32 v35, v33, 2, 64
	s_delay_alu instid0(VALU_DEP_4)
	v_lshlrev_b64_e32 v[24:25], 2, v[16:17]
	v_mov_b32_e32 v36, 0x2004
	s_lshl_b64 s[16:17], s[26:27], 8
	s_mov_b64 s[18:19], 0
	s_xor_b32 s20, vcc_lo, -1
	s_branch .LBB31_13
.LBB31_12:                              ;   in Loop: Header=BB31_13 Depth=1
	s_or_b32 exec_lo, exec_lo, s21
	s_add_nc_u64 s[6:7], s[6:7], 64
	v_add_nc_u64_e32 v[18:19], s[16:17], v[18:19]
	v_cmp_ge_i64_e64 s21, s[6:7], s[10:11]
	v_add_nc_u64_e32 v[22:23], s[16:17], v[22:23]
	s_add_nc_u64 s[18:19], s[18:19], 1
	s_add_nc_u64 s[14:15], s[14:15], s[16:17]
	s_and_b32 vcc_lo, exec_lo, s21
	s_cbranch_vccnz .LBB31_39
.LBB31_13:                              ; =>This Loop Header: Depth=1
                                        ;     Child Loop BB31_15 Depth 2
                                        ;     Child Loop BB31_31 Depth 2
	;; [unrolled: 1-line block ×3, first 2 shown]
	v_mov_b32_e32 v8, 0
	s_and_saveexec_b32 s21, s0
	s_cbranch_execz .LBB31_17
; %bb.14:                               ;   in Loop: Header=BB31_13 Depth=1
	v_mov_b64_e32 v[6:7], v[18:19]
	v_dual_mov_b32 v8, 0 :: v_dual_mov_b32 v9, v34
	v_mov_b32_e32 v26, v0
	s_mov_b32 s22, 0
.LBB31_15:                              ;   Parent Loop BB31_13 Depth=1
                                        ; =>  This Inner Loop Header: Depth=2
	flat_load_b32 v27, v[6:7]
	ds_load_b32 v28, v9
	v_add_nc_u32_e32 v26, 0x80, v26
	s_wait_xcnt 0x0
	v_add_nc_u64_e32 v[6:7], 0x200, v[6:7]
	v_add_nc_u32_e32 v9, 0x200, v9
	s_delay_alu instid0(VALU_DEP_3)
	v_cmp_le_i32_e32 vcc_lo, s8, v26
	s_or_b32 s22, vcc_lo, s22
	s_wait_loadcnt_dscnt 0x0
	v_fmac_f32_e32 v8, v28, v27
	s_and_not1_b32 exec_lo, exec_lo, s22
	s_cbranch_execnz .LBB31_15
; %bb.16:                               ;   in Loop: Header=BB31_13 Depth=1
	s_or_b32 exec_lo, exec_lo, s22
.LBB31_17:                              ;   in Loop: Header=BB31_13 Depth=1
	s_delay_alu instid0(SALU_CYCLE_1) | instskip(NEXT) | instid1(SALU_CYCLE_1)
	s_or_b32 exec_lo, exec_lo, s21
	s_and_b32 vcc_lo, exec_lo, s24
	s_cbranch_vccz .LBB31_24
; %bb.18:                               ;   in Loop: Header=BB31_13 Depth=1
	v_cmp_ne_u32_e32 vcc_lo, 31, v33
	v_add_co_ci_u32_e64 v6, null, 0, v33, vcc_lo
	v_cmp_gt_u32_e32 vcc_lo, 30, v33
	s_delay_alu instid0(VALU_DEP_2)
	v_lshlrev_b32_e32 v6, 2, v6
	v_cndmask_b32_e64 v7, 0, 2, vcc_lo
	v_cmp_gt_u32_e32 vcc_lo, 28, v33
	ds_bpermute_b32 v6, v6, v8
	v_add_lshl_u32 v7, v7, v33, 2
	v_cndmask_b32_e64 v9, 0, 4, vcc_lo
	v_cmp_gt_u32_e32 vcc_lo, 24, v33
	s_delay_alu instid0(VALU_DEP_2)
	v_add_lshl_u32 v9, v9, v33, 2
	s_wait_dscnt 0x0
	v_add_f32_e32 v6, v8, v6
	ds_bpermute_b32 v7, v7, v6
	s_wait_dscnt 0x0
	v_add_f32_e32 v6, v6, v7
	ds_bpermute_b32 v7, v9, v6
	v_cndmask_b32_e64 v9, 0, 8, vcc_lo
	s_wait_dscnt 0x0
	v_add_f32_e32 v6, v6, v7
	s_delay_alu instid0(VALU_DEP_2)
	v_add_lshl_u32 v7, v9, v33, 2
	ds_bpermute_b32 v7, v7, v6
	s_wait_dscnt 0x0
	v_add_f32_e32 v6, v6, v7
	ds_bpermute_b32 v7, v35, v6
	s_wait_dscnt 0x0
	v_add_f32_e32 v7, v6, v7
	s_and_saveexec_b32 s21, s3
; %bb.19:                               ;   in Loop: Header=BB31_13 Depth=1
	ds_store_b32 v32, v7 offset:8192
; %bb.20:                               ;   in Loop: Header=BB31_13 Depth=1
	s_or_b32 exec_lo, exec_lo, s21
	s_mov_b32 s22, 0
	s_mov_b32 s21, 0
	s_wait_dscnt 0x0
	s_barrier_signal -1
	s_barrier_wait -1
                                        ; implicit-def: $vgpr6
	s_and_saveexec_b32 s23, s1
	s_delay_alu instid0(SALU_CYCLE_1)
	s_xor_b32 s23, exec_lo, s23
	s_cbranch_execz .LBB31_22
; %bb.21:                               ;   in Loop: Header=BB31_13 Depth=1
	ds_load_2addr_b32 v[26:27], v36 offset1:1
	ds_load_b32 v6, v3 offset:8204
	s_mov_b32 s21, exec_lo
	s_wait_dscnt 0x1
	v_add_f32_e32 v7, v7, v26
	s_delay_alu instid0(VALU_DEP_1) | instskip(SKIP_1) | instid1(VALU_DEP_1)
	v_add_f32_e32 v7, v7, v27
	s_wait_dscnt 0x0
	v_add_f32_e32 v6, v7, v6
.LBB31_22:                              ;   in Loop: Header=BB31_13 Depth=1
	s_or_b32 exec_lo, exec_lo, s23
	s_delay_alu instid0(SALU_CYCLE_1)
	s_and_b32 vcc_lo, exec_lo, s22
	s_cbranch_vccnz .LBB31_25
.LBB31_23:                              ;   in Loop: Header=BB31_13 Depth=1
	s_delay_alu instid0(VALU_DEP_1)
	v_mov_b32_e32 v8, v6
	s_and_saveexec_b32 s22, s21
	s_cbranch_execnz .LBB31_26
	s_branch .LBB31_27
.LBB31_24:                              ;   in Loop: Header=BB31_13 Depth=1
	s_mov_b32 s21, 0
                                        ; implicit-def: $vgpr6
	s_cbranch_execz .LBB31_23
.LBB31_25:                              ;   in Loop: Header=BB31_13 Depth=1
	s_and_not1_b32 s21, s21, exec_lo
	s_and_b32 s22, s1, exec_lo
	s_delay_alu instid0(SALU_CYCLE_1) | instskip(NEXT) | instid1(SALU_CYCLE_1)
	s_or_b32 s21, s21, s22
	s_and_saveexec_b32 s22, s21
.LBB31_26:                              ;   in Loop: Header=BB31_13 Depth=1
	ds_store_b32 v3, v8 offset:8192
.LBB31_27:                              ;   in Loop: Header=BB31_13 Depth=1
	s_or_b32 exec_lo, exec_lo, s22
	s_wait_dscnt 0x0
	s_barrier_signal -1
	s_barrier_wait -1
	s_and_saveexec_b32 s21, s2
	s_cbranch_execz .LBB31_12
; %bb.28:                               ;   in Loop: Header=BB31_13 Depth=1
	global_load_b32 v6, v3, s[12:13]
	ds_load_b32 v8, v3 offset:8192
	s_mov_b32 s23, s25
	s_wait_loadcnt 0x0
	v_xor_b32_e32 v9, 0x80000000, v6
	v_mov_b64_e32 v[6:7], v[0:1]
	s_wait_dscnt 0x0
	s_delay_alu instid0(VALU_DEP_2)
	v_mul_f32_e32 v26, v8, v9
	v_mov_b64_e32 v[8:9], v[10:11]
	s_wait_xcnt 0x0
	s_and_saveexec_b32 s22, s4
	s_cbranch_execz .LBB31_36
; %bb.29:                               ;   in Loop: Header=BB31_13 Depth=1
	v_mad_nc_u64_u32 v[6:7], s16, s18, v[20:21]
	s_mul_i32 s23, s17, s18
	s_mul_i32 s26, s16, s19
	s_delay_alu instid0(VALU_DEP_1) | instid1(SALU_CYCLE_1)
	v_add3_u32 v7, s26, s23, v7
	s_mov_b32 s26, -1
	s_delay_alu instid0(VALU_DEP_1) | instskip(NEXT) | instid1(VALU_DEP_1)
	v_add_nc_u64_e32 v[8:9], v[6:7], v[14:15]
	v_cmp_ge_u64_e32 vcc_lo, v[8:9], v[6:7]
	v_mov_b64_e32 v[6:7], v[0:1]
	v_mov_b64_e32 v[8:9], v[10:11]
	s_and_b32 s27, vcc_lo, s20
	s_delay_alu instid0(SALU_CYCLE_1)
	s_and_saveexec_b32 s23, s27
	s_cbranch_execz .LBB31_35
; %bb.30:                               ;   in Loop: Header=BB31_13 Depth=1
	v_mov_b64_e32 v[8:9], v[4:5]
	v_mov_b64_e32 v[28:29], v[12:13]
	;; [unrolled: 1-line block ×4, first 2 shown]
	v_mov_b32_e32 v27, v26
	s_mov_b32 s26, 0
.LBB31_31:                              ;   Parent Loop BB31_13 Depth=1
                                        ; =>  This Inner Loop Header: Depth=2
	s_clause 0x1
	flat_load_b32 v38, v[30:31] offset:-512
	flat_load_b32 v39, v[30:31]
	v_dual_lshlrev_b32 v37, 2, v6 :: v_dual_lshlrev_b32 v41, 2, v8
	v_add_nc_u64_e32 v[28:29], -2, v[28:29]
	v_add_nc_u64_e32 v[8:9], 0x100, v[8:9]
	ds_load_b32 v40, v37
	ds_load_b32 v41, v41
	v_add_nc_u64_e32 v[6:7], 0x100, v[6:7]
	v_cmp_eq_u64_e32 vcc_lo, 0, v[28:29]
	s_or_b32 s26, vcc_lo, s26
	s_wait_loadcnt_dscnt 0x0
	v_pk_fma_f32 v[38:39], v[26:27], v[40:41], v[38:39]
	s_clause 0x1
	flat_store_b32 v[30:31], v38 offset:-512
	flat_store_b32 v[30:31], v39
	s_wait_xcnt 0x0
	v_add_nc_u64_e32 v[30:31], 0x400, v[30:31]
	s_and_not1_b32 exec_lo, exec_lo, s26
	s_cbranch_execnz .LBB31_31
; %bb.32:                               ;   in Loop: Header=BB31_13 Depth=1
	s_or_b32 exec_lo, exec_lo, s26
	s_mov_b32 s26, 0
	s_and_saveexec_b32 s27, s5
; %bb.33:                               ;   in Loop: Header=BB31_13 Depth=1
	s_mov_b32 s26, exec_lo
; %bb.34:                               ;   in Loop: Header=BB31_13 Depth=1
	s_or_b32 exec_lo, exec_lo, s27
	v_mov_b64_e32 v[6:7], v[16:17]
	v_mov_b64_e32 v[8:9], v[24:25]
	s_or_not1_b32 s26, s26, exec_lo
.LBB31_35:                              ;   in Loop: Header=BB31_13 Depth=1
	s_or_b32 exec_lo, exec_lo, s23
	s_delay_alu instid0(SALU_CYCLE_1) | instskip(SKIP_1) | instid1(SALU_CYCLE_1)
	s_and_not1_b32 s23, s25, exec_lo
	s_and_b32 s26, s26, exec_lo
	s_or_b32 s23, s23, s26
.LBB31_36:                              ;   in Loop: Header=BB31_13 Depth=1
	s_or_b32 exec_lo, exec_lo, s22
	s_delay_alu instid0(SALU_CYCLE_1)
	s_and_b32 exec_lo, exec_lo, s23
	s_cbranch_execz .LBB31_12
; %bb.37:                               ;   in Loop: Header=BB31_13 Depth=1
	v_add_nc_u64_e32 v[8:9], s[14:15], v[8:9]
	v_lshlrev_b32_e32 v27, 2, v6
	s_mov_b32 s22, 0
.LBB31_38:                              ;   Parent Loop BB31_13 Depth=1
                                        ; =>  This Inner Loop Header: Depth=2
	flat_load_b32 v28, v[8:9]
	ds_load_b32 v29, v27
	v_add_nc_u64_e32 v[6:7], 0x80, v[6:7]
	v_add_nc_u32_e32 v27, 0x200, v27
	s_delay_alu instid0(VALU_DEP_2)
	v_cmp_le_i64_e32 vcc_lo, s[8:9], v[6:7]
	s_or_b32 s22, vcc_lo, s22
	s_wait_loadcnt_dscnt 0x0
	v_fmac_f32_e32 v28, v26, v29
	flat_store_b32 v[8:9], v28
	s_wait_xcnt 0x0
	v_add_nc_u64_e32 v[8:9], 0x200, v[8:9]
	s_and_not1_b32 exec_lo, exec_lo, s22
	s_cbranch_execnz .LBB31_38
	s_branch .LBB31_12
.LBB31_39:
	s_endpgm
	.section	.rodata,"a",@progbits
	.p2align	6, 0x0
	.amdhsa_kernel _ZN9rocsolver6v33100L22larf_left_kernel_smallILi128EflPKPfEEvT1_S5_T2_lS5_lPKT0_lS6_lS5_l
		.amdhsa_group_segment_fixed_size 8704
		.amdhsa_private_segment_fixed_size 0
		.amdhsa_kernarg_size 96
		.amdhsa_user_sgpr_count 2
		.amdhsa_user_sgpr_dispatch_ptr 0
		.amdhsa_user_sgpr_queue_ptr 0
		.amdhsa_user_sgpr_kernarg_segment_ptr 1
		.amdhsa_user_sgpr_dispatch_id 0
		.amdhsa_user_sgpr_kernarg_preload_length 0
		.amdhsa_user_sgpr_kernarg_preload_offset 0
		.amdhsa_user_sgpr_private_segment_size 0
		.amdhsa_wavefront_size32 1
		.amdhsa_uses_dynamic_stack 0
		.amdhsa_enable_private_segment 0
		.amdhsa_system_sgpr_workgroup_id_x 1
		.amdhsa_system_sgpr_workgroup_id_y 1
		.amdhsa_system_sgpr_workgroup_id_z 0
		.amdhsa_system_sgpr_workgroup_info 0
		.amdhsa_system_vgpr_workitem_id 0
		.amdhsa_next_free_vgpr 42
		.amdhsa_next_free_sgpr 34
		.amdhsa_named_barrier_count 0
		.amdhsa_reserve_vcc 1
		.amdhsa_float_round_mode_32 0
		.amdhsa_float_round_mode_16_64 0
		.amdhsa_float_denorm_mode_32 3
		.amdhsa_float_denorm_mode_16_64 3
		.amdhsa_fp16_overflow 0
		.amdhsa_memory_ordered 1
		.amdhsa_forward_progress 1
		.amdhsa_inst_pref_size 16
		.amdhsa_round_robin_scheduling 0
		.amdhsa_exception_fp_ieee_invalid_op 0
		.amdhsa_exception_fp_denorm_src 0
		.amdhsa_exception_fp_ieee_div_zero 0
		.amdhsa_exception_fp_ieee_overflow 0
		.amdhsa_exception_fp_ieee_underflow 0
		.amdhsa_exception_fp_ieee_inexact 0
		.amdhsa_exception_int_div_zero 0
	.end_amdhsa_kernel
	.section	.text._ZN9rocsolver6v33100L22larf_left_kernel_smallILi128EflPKPfEEvT1_S5_T2_lS5_lPKT0_lS6_lS5_l,"axG",@progbits,_ZN9rocsolver6v33100L22larf_left_kernel_smallILi128EflPKPfEEvT1_S5_T2_lS5_lPKT0_lS6_lS5_l,comdat
.Lfunc_end31:
	.size	_ZN9rocsolver6v33100L22larf_left_kernel_smallILi128EflPKPfEEvT1_S5_T2_lS5_lPKT0_lS6_lS5_l, .Lfunc_end31-_ZN9rocsolver6v33100L22larf_left_kernel_smallILi128EflPKPfEEvT1_S5_T2_lS5_lPKT0_lS6_lS5_l
                                        ; -- End function
	.set _ZN9rocsolver6v33100L22larf_left_kernel_smallILi128EflPKPfEEvT1_S5_T2_lS5_lPKT0_lS6_lS5_l.num_vgpr, 42
	.set _ZN9rocsolver6v33100L22larf_left_kernel_smallILi128EflPKPfEEvT1_S5_T2_lS5_lPKT0_lS6_lS5_l.num_agpr, 0
	.set _ZN9rocsolver6v33100L22larf_left_kernel_smallILi128EflPKPfEEvT1_S5_T2_lS5_lPKT0_lS6_lS5_l.numbered_sgpr, 34
	.set _ZN9rocsolver6v33100L22larf_left_kernel_smallILi128EflPKPfEEvT1_S5_T2_lS5_lPKT0_lS6_lS5_l.num_named_barrier, 0
	.set _ZN9rocsolver6v33100L22larf_left_kernel_smallILi128EflPKPfEEvT1_S5_T2_lS5_lPKT0_lS6_lS5_l.private_seg_size, 0
	.set _ZN9rocsolver6v33100L22larf_left_kernel_smallILi128EflPKPfEEvT1_S5_T2_lS5_lPKT0_lS6_lS5_l.uses_vcc, 1
	.set _ZN9rocsolver6v33100L22larf_left_kernel_smallILi128EflPKPfEEvT1_S5_T2_lS5_lPKT0_lS6_lS5_l.uses_flat_scratch, 1
	.set _ZN9rocsolver6v33100L22larf_left_kernel_smallILi128EflPKPfEEvT1_S5_T2_lS5_lPKT0_lS6_lS5_l.has_dyn_sized_stack, 0
	.set _ZN9rocsolver6v33100L22larf_left_kernel_smallILi128EflPKPfEEvT1_S5_T2_lS5_lPKT0_lS6_lS5_l.has_recursion, 0
	.set _ZN9rocsolver6v33100L22larf_left_kernel_smallILi128EflPKPfEEvT1_S5_T2_lS5_lPKT0_lS6_lS5_l.has_indirect_call, 0
	.section	.AMDGPU.csdata,"",@progbits
; Kernel info:
; codeLenInByte = 1952
; TotalNumSgprs: 36
; NumVgprs: 42
; ScratchSize: 0
; MemoryBound: 0
; FloatMode: 240
; IeeeMode: 1
; LDSByteSize: 8704 bytes/workgroup (compile time only)
; SGPRBlocks: 0
; VGPRBlocks: 2
; NumSGPRsForWavesPerEU: 36
; NumVGPRsForWavesPerEU: 42
; NamedBarCnt: 0
; Occupancy: 16
; WaveLimiterHint : 1
; COMPUTE_PGM_RSRC2:SCRATCH_EN: 0
; COMPUTE_PGM_RSRC2:USER_SGPR: 2
; COMPUTE_PGM_RSRC2:TRAP_HANDLER: 0
; COMPUTE_PGM_RSRC2:TGID_X_EN: 1
; COMPUTE_PGM_RSRC2:TGID_Y_EN: 1
; COMPUTE_PGM_RSRC2:TGID_Z_EN: 0
; COMPUTE_PGM_RSRC2:TIDIG_COMP_CNT: 0
	.section	.text._ZN9rocsolver6v33100L22larf_left_kernel_smallILi256EflPKPfEEvT1_S5_T2_lS5_lPKT0_lS6_lS5_l,"axG",@progbits,_ZN9rocsolver6v33100L22larf_left_kernel_smallILi256EflPKPfEEvT1_S5_T2_lS5_lPKT0_lS6_lS5_l,comdat
	.globl	_ZN9rocsolver6v33100L22larf_left_kernel_smallILi256EflPKPfEEvT1_S5_T2_lS5_lPKT0_lS6_lS5_l ; -- Begin function _ZN9rocsolver6v33100L22larf_left_kernel_smallILi256EflPKPfEEvT1_S5_T2_lS5_lPKT0_lS6_lS5_l
	.p2align	8
	.type	_ZN9rocsolver6v33100L22larf_left_kernel_smallILi256EflPKPfEEvT1_S5_T2_lS5_lPKT0_lS6_lS5_l,@function
_ZN9rocsolver6v33100L22larf_left_kernel_smallILi256EflPKPfEEvT1_S5_T2_lS5_lPKT0_lS6_lS5_l: ; @_ZN9rocsolver6v33100L22larf_left_kernel_smallILi256EflPKPfEEvT1_S5_T2_lS5_lPKT0_lS6_lS5_l
; %bb.0:
	s_clause 0x2
	s_load_b64 s[6:7], s[0:1], 0x20
	s_load_b256 s[8:15], s[0:1], 0x0
	s_load_b256 s[16:23], s[0:1], 0x30
	s_bfe_u32 s2, ttmp6, 0x4000c
	s_and_b32 s4, ttmp6, 15
	s_add_co_i32 s2, s2, 1
	s_getreg_b32 s3, hwreg(HW_REG_IB_STS2, 6, 4)
	s_mul_i32 s2, ttmp9, s2
	s_mov_b32 s5, 0
	s_add_co_i32 s4, s4, s2
	s_cmp_eq_u32 s3, 0
	s_cselect_b32 s4, ttmp9, s4
	s_wait_kmcnt 0x0
	v_cmp_gt_i64_e64 s24, s[6:7], 0
	s_and_b32 vcc_lo, exec_lo, s24
	s_mov_b64 s[24:25], 0
	s_cbranch_vccnz .LBB32_2
; %bb.1:
	s_sub_nc_u64 s[24:25], 1, s[8:9]
	s_delay_alu instid0(SALU_CYCLE_1)
	s_mul_u64 s[24:25], s[6:7], s[24:25]
.LBB32_2:
	s_load_b64 s[20:21], s[20:21], s4 offset:0x0 scale_offset
	v_mov_b32_e32 v1, 0
	v_not_b32_e32 v2, v0
	s_delay_alu instid0(VALU_DEP_2)
	v_cmp_gt_i64_e64 s2, s[8:9], v[0:1]
	s_and_saveexec_b32 s30, s2
	s_cbranch_execz .LBB32_10
; %bb.3:
	s_load_b64 s[12:13], s[12:13], s4 offset:0x0 scale_offset
	v_mov_b32_e32 v3, -1
	v_mov_b64_e32 v[8:9], v[0:1]
	s_mov_b32 s26, -1
	s_mov_b32 s31, exec_lo
	s_delay_alu instid0(VALU_DEP_2) | instskip(NEXT) | instid1(VALU_DEP_1)
	v_add_nc_u64_e32 v[4:5], s[8:9], v[2:3]
	v_cmpx_lt_u64_e32 0xff, v[4:5]
	s_cbranch_execz .LBB32_7
; %bb.4:
	v_lshrrev_b64 v[4:5], 8, v[4:5]
	s_lshl_b64 s[26:27], s[14:15], 2
	v_or_b32_e32 v10, 0x100, v0
	s_lshl_b64 s[28:29], s[24:25], 2
	s_wait_kmcnt 0x0
	s_add_nc_u64 s[26:27], s[12:13], s[26:27]
	s_mov_b32 s33, 0
	s_add_nc_u64 s[26:27], s[26:27], s[28:29]
	v_add_nc_u64_e32 v[4:5], 1, v[4:5]
	v_mov_b32_e32 v9, 0
	s_mov_b32 s28, s6
	s_mov_b32 s29, s7
	s_delay_alu instid0(VALU_DEP_2) | instskip(NEXT) | instid1(VALU_DEP_2)
	v_dual_mov_b32 v8, v0 :: v_dual_mov_b32 v7, v5
	v_dual_mov_b32 v11, v9 :: v_dual_bitop2_b32 v6, -2, v4 bitop3:0x40
	s_delay_alu instid0(VALU_DEP_1)
	v_mov_b64_e32 v[12:13], v[6:7]
.LBB32_5:                               ; =>This Inner Loop Header: Depth=1
	s_delay_alu instid0(VALU_DEP_3) | instskip(NEXT) | instid1(VALU_DEP_3)
	v_mul_u64_e32 v[14:15], s[6:7], v[8:9]
	v_mul_u64_e32 v[16:17], s[28:29], v[10:11]
	s_delay_alu instid0(VALU_DEP_3) | instskip(NEXT) | instid1(VALU_DEP_1)
	v_add_nc_u64_e32 v[12:13], -2, v[12:13]
	v_cmp_eq_u64_e32 vcc_lo, 0, v[12:13]
	s_or_b32 s33, vcc_lo, s33
	s_delay_alu instid0(VALU_DEP_4) | instskip(NEXT) | instid1(VALU_DEP_4)
	v_lshl_add_u64 v[14:15], v[14:15], 2, s[26:27]
	v_lshl_add_u64 v[16:17], v[16:17], 2, s[26:27]
	s_clause 0x1
	flat_load_b32 v3, v[14:15]
	flat_load_b32 v18, v[16:17]
	s_wait_xcnt 0x1
	v_dual_lshlrev_b32 v14, 2, v8 :: v_dual_lshlrev_b32 v15, 2, v10
	v_add_nc_u64_e32 v[10:11], 0x200, v[10:11]
	v_add_nc_u64_e32 v[8:9], 0x200, v[8:9]
	s_wait_loadcnt_dscnt 0x101
	ds_store_b32 v14, v3
	s_wait_loadcnt_dscnt 0x1
	ds_store_b32 v15, v18
	s_wait_xcnt 0x0
	s_and_not1_b32 exec_lo, exec_lo, s33
	s_cbranch_execnz .LBB32_5
; %bb.6:
	s_or_b32 exec_lo, exec_lo, s33
	v_lshlrev_b64_e32 v[8:9], 8, v[6:7]
	v_cmp_ne_u64_e32 vcc_lo, v[4:5], v[6:7]
	s_delay_alu instid0(VALU_DEP_2)
	v_or_b32_e32 v8, v8, v0
	s_or_not1_b32 s26, vcc_lo, exec_lo
.LBB32_7:
	s_or_b32 exec_lo, exec_lo, s31
	s_delay_alu instid0(SALU_CYCLE_1)
	s_and_b32 exec_lo, exec_lo, s26
	s_cbranch_execz .LBB32_10
; %bb.8:
	v_mul_u64_e32 v[4:5], s[6:7], v[8:9]
	s_lshl_b64 s[14:15], s[14:15], 2
	s_lshl_b64 s[24:25], s[24:25], 2
	s_wait_kmcnt 0x0
	s_add_nc_u64 s[12:13], s[12:13], s[14:15]
	v_lshlrev_b32_e32 v3, 2, v8
	s_add_nc_u64 s[12:13], s[12:13], s[24:25]
	s_lshl_b64 s[6:7], s[6:7], 10
	s_delay_alu instid0(VALU_DEP_2)
	v_lshl_add_u64 v[4:5], v[4:5], 2, s[12:13]
	s_mov_b32 s12, 0
.LBB32_9:                               ; =>This Inner Loop Header: Depth=1
	flat_load_b32 v6, v[4:5]
	v_add_nc_u64_e32 v[8:9], 0x100, v[8:9]
	s_wait_xcnt 0x0
	v_add_nc_u64_e32 v[4:5], s[6:7], v[4:5]
	s_delay_alu instid0(VALU_DEP_2)
	v_cmp_le_i64_e32 vcc_lo, s[8:9], v[8:9]
	s_or_b32 s12, vcc_lo, s12
	s_wait_loadcnt_dscnt 0x0
	ds_store_b32 v3, v6
	v_add_nc_u32_e32 v3, 0x400, v3
	s_and_not1_b32 exec_lo, exec_lo, s12
	s_cbranch_execnz .LBB32_9
.LBB32_10:
	s_or_b32 exec_lo, exec_lo, s30
	s_bfe_u32 s6, ttmp6, 0x40010
	s_bfe_u32 s7, ttmp6, 0x40004
	s_add_co_i32 s6, s6, 1
	s_wait_dscnt 0x0
	s_mul_i32 s6, ttmp7, s6
	s_barrier_signal -1
	s_add_co_i32 s6, s7, s6
	s_cmp_eq_u32 s3, 0
	s_mov_b32 s7, 0
	s_cselect_b32 s6, ttmp7, s6
	s_barrier_wait -1
	v_cmp_le_i64_e64 s3, s[10:11], s[6:7]
	s_and_b32 vcc_lo, exec_lo, s3
	s_cbranch_vccnz .LBB32_39
; %bb.11:
	v_mov_b32_e32 v3, -1
	s_load_b64 s[26:27], s[0:1], 0x50
	s_wait_xcnt 0x0
	s_mul_u64 s[4:5], s[18:19], s[4:5]
	v_lshrrev_b32_e32 v32, 3, v0
	s_lshl_b64 s[4:5], s[4:5], 2
	v_add_nc_u64_e32 v[6:7], s[8:9], v[2:3]
	v_mov_b32_e32 v3, 0
	s_cmp_gt_i32 s8, 1
	s_wait_kmcnt 0x0
	s_add_nc_u64 s[12:13], s[16:17], s[4:5]
	s_cselect_b32 s24, -1, 0
	s_lshl_b64 s[16:17], s[22:23], 2
	v_dual_mov_b32 v11, v3 :: v_dual_lshlrev_b32 v10, 2, v0
	v_lshrrev_b64 v[8:9], 8, v[6:7]
	s_mov_b64 s[14:15], 0x3fffffffffffffff
	v_lshlrev_b64_e32 v[14:15], 2, v[6:7]
	v_cmp_lt_u64_e32 vcc_lo, s[14:15], v[6:7]
	v_and_b32_e32 v2, 31, v0
	v_mbcnt_lo_u32_b32 v33, -1, 0
	v_cmp_gt_u64_e64 s25, 0x300, v[6:7]
	v_add_nc_u64_e32 v[8:9], 1, v[8:9]
	s_mul_u64 s[18:19], s[26:27], s[6:7]
	v_cmp_lt_u64_e64 s4, 0x2ff, v[6:7]
	s_add_nc_u64 s[22:23], s[18:19], s[22:23]
	s_lshl_b64 s[18:19], s[18:19], 2
	v_add_nc_u64_e32 v[20:21], s[22:23], v[0:1]
	s_add_nc_u64 s[16:17], s[18:19], s[16:17]
	v_dual_mov_b32 v13, v9 :: v_dual_bitop2_b32 v12, -2, v8 bitop3:0x40
	s_add_nc_u64 s[14:15], s[20:21], s[16:17]
	v_cmp_gt_i32_e64 s0, s8, v0
	v_add_nc_u64_e32 v[18:19], s[14:15], v[10:11]
	v_cmp_eq_u32_e64 s1, 0, v0
	v_lshlrev_b64_e32 v[16:17], 8, v[12:13]
	v_cmp_ne_u64_e64 s5, v[8:9], v[12:13]
	v_or_b32_e32 v4, 0x100, v0
	v_cmp_eq_u32_e64 s3, 0, v2
	v_and_b32_e32 v14, 0xfffffc00, v14
	v_mov_b32_e32 v5, v3
	v_add_nc_u64_e32 v[22:23], 0x400, v[18:19]
	v_or_b32_e32 v16, v16, v0
	v_lshl_add_u64 v[20:21], v[20:21], 2, s[20:21]
	v_dual_mov_b32 v2, v0 :: v_dual_lshlrev_b32 v34, 2, v0
	v_lshl_or_b32 v35, v33, 2, 64
	s_delay_alu instid0(VALU_DEP_4)
	v_lshlrev_b64_e32 v[24:25], 2, v[16:17]
	v_mov_b32_e32 v36, 0x2004
	v_mov_b32_e32 v37, 0x200c
	;; [unrolled: 1-line block ×3, first 2 shown]
	s_lshl_b64 s[16:17], s[26:27], 8
	s_mov_b64 s[18:19], 0
	s_xor_b32 s20, vcc_lo, -1
	s_branch .LBB32_13
.LBB32_12:                              ;   in Loop: Header=BB32_13 Depth=1
	s_or_b32 exec_lo, exec_lo, s21
	s_add_nc_u64 s[6:7], s[6:7], 64
	v_add_nc_u64_e32 v[18:19], s[16:17], v[18:19]
	v_cmp_ge_i64_e64 s21, s[6:7], s[10:11]
	v_add_nc_u64_e32 v[22:23], s[16:17], v[22:23]
	s_add_nc_u64 s[18:19], s[18:19], 1
	s_add_nc_u64 s[14:15], s[14:15], s[16:17]
	s_and_b32 vcc_lo, exec_lo, s21
	s_cbranch_vccnz .LBB32_39
.LBB32_13:                              ; =>This Loop Header: Depth=1
                                        ;     Child Loop BB32_15 Depth 2
                                        ;     Child Loop BB32_31 Depth 2
	;; [unrolled: 1-line block ×3, first 2 shown]
	v_mov_b32_e32 v8, 0
	s_and_saveexec_b32 s21, s0
	s_cbranch_execz .LBB32_17
; %bb.14:                               ;   in Loop: Header=BB32_13 Depth=1
	v_mov_b64_e32 v[6:7], v[18:19]
	v_dual_mov_b32 v8, 0 :: v_dual_mov_b32 v9, v34
	v_mov_b32_e32 v26, v0
	s_mov_b32 s22, 0
.LBB32_15:                              ;   Parent Loop BB32_13 Depth=1
                                        ; =>  This Inner Loop Header: Depth=2
	flat_load_b32 v27, v[6:7]
	ds_load_b32 v28, v9
	v_add_nc_u32_e32 v26, 0x100, v26
	s_wait_xcnt 0x0
	v_add_nc_u64_e32 v[6:7], 0x400, v[6:7]
	v_add_nc_u32_e32 v9, 0x400, v9
	s_delay_alu instid0(VALU_DEP_3)
	v_cmp_le_i32_e32 vcc_lo, s8, v26
	s_or_b32 s22, vcc_lo, s22
	s_wait_loadcnt_dscnt 0x0
	v_fmac_f32_e32 v8, v28, v27
	s_and_not1_b32 exec_lo, exec_lo, s22
	s_cbranch_execnz .LBB32_15
; %bb.16:                               ;   in Loop: Header=BB32_13 Depth=1
	s_or_b32 exec_lo, exec_lo, s22
.LBB32_17:                              ;   in Loop: Header=BB32_13 Depth=1
	s_delay_alu instid0(SALU_CYCLE_1) | instskip(NEXT) | instid1(SALU_CYCLE_1)
	s_or_b32 exec_lo, exec_lo, s21
	s_and_b32 vcc_lo, exec_lo, s24
	s_cbranch_vccz .LBB32_24
; %bb.18:                               ;   in Loop: Header=BB32_13 Depth=1
	v_cmp_ne_u32_e32 vcc_lo, 31, v33
	v_add_co_ci_u32_e64 v6, null, 0, v33, vcc_lo
	v_cmp_gt_u32_e32 vcc_lo, 30, v33
	s_delay_alu instid0(VALU_DEP_2)
	v_lshlrev_b32_e32 v6, 2, v6
	v_cndmask_b32_e64 v7, 0, 2, vcc_lo
	v_cmp_gt_u32_e32 vcc_lo, 28, v33
	ds_bpermute_b32 v6, v6, v8
	v_add_lshl_u32 v7, v7, v33, 2
	v_cndmask_b32_e64 v9, 0, 4, vcc_lo
	v_cmp_gt_u32_e32 vcc_lo, 24, v33
	s_delay_alu instid0(VALU_DEP_2)
	v_add_lshl_u32 v9, v9, v33, 2
	s_wait_dscnt 0x0
	v_add_f32_e32 v6, v8, v6
	ds_bpermute_b32 v7, v7, v6
	s_wait_dscnt 0x0
	v_add_f32_e32 v6, v6, v7
	ds_bpermute_b32 v7, v9, v6
	v_cndmask_b32_e64 v9, 0, 8, vcc_lo
	s_wait_dscnt 0x0
	v_add_f32_e32 v6, v6, v7
	s_delay_alu instid0(VALU_DEP_2)
	v_add_lshl_u32 v7, v9, v33, 2
	ds_bpermute_b32 v7, v7, v6
	s_wait_dscnt 0x0
	v_add_f32_e32 v6, v6, v7
	ds_bpermute_b32 v7, v35, v6
	s_wait_dscnt 0x0
	v_add_f32_e32 v6, v6, v7
	s_and_saveexec_b32 s21, s3
; %bb.19:                               ;   in Loop: Header=BB32_13 Depth=1
	ds_store_b32 v32, v6 offset:8192
; %bb.20:                               ;   in Loop: Header=BB32_13 Depth=1
	s_or_b32 exec_lo, exec_lo, s21
	s_mov_b32 s22, 0
	s_mov_b32 s21, 0
	s_wait_dscnt 0x0
	s_barrier_signal -1
	s_barrier_wait -1
                                        ; implicit-def: $vgpr7
	s_and_saveexec_b32 s23, s1
	s_delay_alu instid0(SALU_CYCLE_1)
	s_xor_b32 s23, exec_lo, s23
	s_cbranch_execz .LBB32_22
; %bb.21:                               ;   in Loop: Header=BB32_13 Depth=1
	ds_load_2addr_b32 v[26:27], v36 offset1:1
	ds_load_2addr_b32 v[28:29], v37 offset1:1
	;; [unrolled: 1-line block ×3, first 2 shown]
	ds_load_b32 v7, v3 offset:8220
	s_mov_b32 s21, exec_lo
	s_wait_dscnt 0x3
	v_add_f32_e32 v6, v6, v26
	s_delay_alu instid0(VALU_DEP_1) | instskip(SKIP_1) | instid1(VALU_DEP_1)
	v_add_f32_e32 v6, v6, v27
	s_wait_dscnt 0x2
	v_add_f32_e32 v6, v6, v28
	s_delay_alu instid0(VALU_DEP_1) | instskip(SKIP_1) | instid1(VALU_DEP_1)
	v_add_f32_e32 v6, v6, v29
	s_wait_dscnt 0x1
	v_add_f32_e32 v6, v6, v30
	s_delay_alu instid0(VALU_DEP_1) | instskip(SKIP_1) | instid1(VALU_DEP_1)
	v_add_f32_e32 v6, v6, v31
	s_wait_dscnt 0x0
	v_add_f32_e32 v7, v6, v7
.LBB32_22:                              ;   in Loop: Header=BB32_13 Depth=1
	s_or_b32 exec_lo, exec_lo, s23
	s_delay_alu instid0(SALU_CYCLE_1)
	s_and_b32 vcc_lo, exec_lo, s22
	s_cbranch_vccnz .LBB32_25
.LBB32_23:                              ;   in Loop: Header=BB32_13 Depth=1
	s_delay_alu instid0(VALU_DEP_1)
	v_mov_b32_e32 v8, v7
	s_and_saveexec_b32 s22, s21
	s_cbranch_execnz .LBB32_26
	s_branch .LBB32_27
.LBB32_24:                              ;   in Loop: Header=BB32_13 Depth=1
	s_mov_b32 s21, 0
                                        ; implicit-def: $vgpr7
	s_cbranch_execz .LBB32_23
.LBB32_25:                              ;   in Loop: Header=BB32_13 Depth=1
	s_and_not1_b32 s21, s21, exec_lo
	s_and_b32 s22, s1, exec_lo
	s_delay_alu instid0(SALU_CYCLE_1) | instskip(NEXT) | instid1(SALU_CYCLE_1)
	s_or_b32 s21, s21, s22
	s_and_saveexec_b32 s22, s21
.LBB32_26:                              ;   in Loop: Header=BB32_13 Depth=1
	ds_store_b32 v3, v8 offset:8192
.LBB32_27:                              ;   in Loop: Header=BB32_13 Depth=1
	s_or_b32 exec_lo, exec_lo, s22
	s_wait_dscnt 0x0
	s_barrier_signal -1
	s_barrier_wait -1
	s_and_saveexec_b32 s21, s2
	s_cbranch_execz .LBB32_12
; %bb.28:                               ;   in Loop: Header=BB32_13 Depth=1
	global_load_b32 v6, v3, s[12:13]
	ds_load_b32 v8, v3 offset:8192
	s_mov_b32 s23, s25
	s_wait_loadcnt 0x0
	v_xor_b32_e32 v9, 0x80000000, v6
	v_mov_b64_e32 v[6:7], v[0:1]
	s_wait_dscnt 0x0
	s_delay_alu instid0(VALU_DEP_2)
	v_mul_f32_e32 v26, v8, v9
	v_mov_b64_e32 v[8:9], v[10:11]
	s_wait_xcnt 0x0
	s_and_saveexec_b32 s22, s4
	s_cbranch_execz .LBB32_36
; %bb.29:                               ;   in Loop: Header=BB32_13 Depth=1
	v_mad_nc_u64_u32 v[6:7], s16, s18, v[20:21]
	s_mul_i32 s23, s17, s18
	s_mul_i32 s26, s16, s19
	s_delay_alu instid0(VALU_DEP_1) | instid1(SALU_CYCLE_1)
	v_add3_u32 v7, s26, s23, v7
	s_mov_b32 s26, -1
	s_delay_alu instid0(VALU_DEP_1) | instskip(NEXT) | instid1(VALU_DEP_1)
	v_add_nc_u64_e32 v[8:9], v[6:7], v[14:15]
	v_cmp_ge_u64_e32 vcc_lo, v[8:9], v[6:7]
	v_mov_b64_e32 v[6:7], v[0:1]
	v_mov_b64_e32 v[8:9], v[10:11]
	s_and_b32 s27, vcc_lo, s20
	s_delay_alu instid0(SALU_CYCLE_1)
	s_and_saveexec_b32 s23, s27
	s_cbranch_execz .LBB32_35
; %bb.30:                               ;   in Loop: Header=BB32_13 Depth=1
	v_mov_b64_e32 v[8:9], v[4:5]
	v_mov_b64_e32 v[28:29], v[12:13]
	;; [unrolled: 1-line block ×4, first 2 shown]
	v_mov_b32_e32 v27, v26
	s_mov_b32 s26, 0
.LBB32_31:                              ;   Parent Loop BB32_13 Depth=1
                                        ; =>  This Inner Loop Header: Depth=2
	s_clause 0x1
	flat_load_b32 v40, v[30:31] offset:-1024
	flat_load_b32 v41, v[30:31]
	v_dual_lshlrev_b32 v39, 2, v6 :: v_dual_lshlrev_b32 v43, 2, v8
	v_add_nc_u64_e32 v[28:29], -2, v[28:29]
	v_add_nc_u64_e32 v[8:9], 0x200, v[8:9]
	ds_load_b32 v42, v39
	ds_load_b32 v43, v43
	v_add_nc_u64_e32 v[6:7], 0x200, v[6:7]
	v_cmp_eq_u64_e32 vcc_lo, 0, v[28:29]
	s_or_b32 s26, vcc_lo, s26
	s_wait_loadcnt_dscnt 0x0
	v_pk_fma_f32 v[40:41], v[26:27], v[42:43], v[40:41]
	s_clause 0x1
	flat_store_b32 v[30:31], v40 offset:-1024
	flat_store_b32 v[30:31], v41
	s_wait_xcnt 0x0
	v_add_nc_u64_e32 v[30:31], 0x800, v[30:31]
	s_and_not1_b32 exec_lo, exec_lo, s26
	s_cbranch_execnz .LBB32_31
; %bb.32:                               ;   in Loop: Header=BB32_13 Depth=1
	s_or_b32 exec_lo, exec_lo, s26
	s_mov_b32 s26, 0
	s_and_saveexec_b32 s27, s5
; %bb.33:                               ;   in Loop: Header=BB32_13 Depth=1
	s_mov_b32 s26, exec_lo
; %bb.34:                               ;   in Loop: Header=BB32_13 Depth=1
	s_or_b32 exec_lo, exec_lo, s27
	v_mov_b64_e32 v[6:7], v[16:17]
	v_mov_b64_e32 v[8:9], v[24:25]
	s_or_not1_b32 s26, s26, exec_lo
.LBB32_35:                              ;   in Loop: Header=BB32_13 Depth=1
	s_or_b32 exec_lo, exec_lo, s23
	s_delay_alu instid0(SALU_CYCLE_1) | instskip(SKIP_1) | instid1(SALU_CYCLE_1)
	s_and_not1_b32 s23, s25, exec_lo
	s_and_b32 s26, s26, exec_lo
	s_or_b32 s23, s23, s26
.LBB32_36:                              ;   in Loop: Header=BB32_13 Depth=1
	s_or_b32 exec_lo, exec_lo, s22
	s_delay_alu instid0(SALU_CYCLE_1)
	s_and_b32 exec_lo, exec_lo, s23
	s_cbranch_execz .LBB32_12
; %bb.37:                               ;   in Loop: Header=BB32_13 Depth=1
	v_add_nc_u64_e32 v[8:9], s[14:15], v[8:9]
	v_lshlrev_b32_e32 v27, 2, v6
	s_mov_b32 s22, 0
.LBB32_38:                              ;   Parent Loop BB32_13 Depth=1
                                        ; =>  This Inner Loop Header: Depth=2
	flat_load_b32 v28, v[8:9]
	ds_load_b32 v29, v27
	v_add_nc_u64_e32 v[6:7], 0x100, v[6:7]
	v_add_nc_u32_e32 v27, 0x400, v27
	s_delay_alu instid0(VALU_DEP_2)
	v_cmp_le_i64_e32 vcc_lo, s[8:9], v[6:7]
	s_or_b32 s22, vcc_lo, s22
	s_wait_loadcnt_dscnt 0x0
	v_fmac_f32_e32 v28, v26, v29
	flat_store_b32 v[8:9], v28
	s_wait_xcnt 0x0
	v_add_nc_u64_e32 v[8:9], 0x400, v[8:9]
	s_and_not1_b32 exec_lo, exec_lo, s22
	s_cbranch_execnz .LBB32_38
	s_branch .LBB32_12
.LBB32_39:
	s_endpgm
	.section	.rodata,"a",@progbits
	.p2align	6, 0x0
	.amdhsa_kernel _ZN9rocsolver6v33100L22larf_left_kernel_smallILi256EflPKPfEEvT1_S5_T2_lS5_lPKT0_lS6_lS5_l
		.amdhsa_group_segment_fixed_size 9216
		.amdhsa_private_segment_fixed_size 0
		.amdhsa_kernarg_size 96
		.amdhsa_user_sgpr_count 2
		.amdhsa_user_sgpr_dispatch_ptr 0
		.amdhsa_user_sgpr_queue_ptr 0
		.amdhsa_user_sgpr_kernarg_segment_ptr 1
		.amdhsa_user_sgpr_dispatch_id 0
		.amdhsa_user_sgpr_kernarg_preload_length 0
		.amdhsa_user_sgpr_kernarg_preload_offset 0
		.amdhsa_user_sgpr_private_segment_size 0
		.amdhsa_wavefront_size32 1
		.amdhsa_uses_dynamic_stack 0
		.amdhsa_enable_private_segment 0
		.amdhsa_system_sgpr_workgroup_id_x 1
		.amdhsa_system_sgpr_workgroup_id_y 1
		.amdhsa_system_sgpr_workgroup_id_z 0
		.amdhsa_system_sgpr_workgroup_info 0
		.amdhsa_system_vgpr_workitem_id 0
		.amdhsa_next_free_vgpr 44
		.amdhsa_next_free_sgpr 34
		.amdhsa_named_barrier_count 0
		.amdhsa_reserve_vcc 1
		.amdhsa_float_round_mode_32 0
		.amdhsa_float_round_mode_16_64 0
		.amdhsa_float_denorm_mode_32 3
		.amdhsa_float_denorm_mode_16_64 3
		.amdhsa_fp16_overflow 0
		.amdhsa_memory_ordered 1
		.amdhsa_forward_progress 1
		.amdhsa_inst_pref_size 16
		.amdhsa_round_robin_scheduling 0
		.amdhsa_exception_fp_ieee_invalid_op 0
		.amdhsa_exception_fp_denorm_src 0
		.amdhsa_exception_fp_ieee_div_zero 0
		.amdhsa_exception_fp_ieee_overflow 0
		.amdhsa_exception_fp_ieee_underflow 0
		.amdhsa_exception_fp_ieee_inexact 0
		.amdhsa_exception_int_div_zero 0
	.end_amdhsa_kernel
	.section	.text._ZN9rocsolver6v33100L22larf_left_kernel_smallILi256EflPKPfEEvT1_S5_T2_lS5_lPKT0_lS6_lS5_l,"axG",@progbits,_ZN9rocsolver6v33100L22larf_left_kernel_smallILi256EflPKPfEEvT1_S5_T2_lS5_lPKT0_lS6_lS5_l,comdat
.Lfunc_end32:
	.size	_ZN9rocsolver6v33100L22larf_left_kernel_smallILi256EflPKPfEEvT1_S5_T2_lS5_lPKT0_lS6_lS5_l, .Lfunc_end32-_ZN9rocsolver6v33100L22larf_left_kernel_smallILi256EflPKPfEEvT1_S5_T2_lS5_lPKT0_lS6_lS5_l
                                        ; -- End function
	.set _ZN9rocsolver6v33100L22larf_left_kernel_smallILi256EflPKPfEEvT1_S5_T2_lS5_lPKT0_lS6_lS5_l.num_vgpr, 44
	.set _ZN9rocsolver6v33100L22larf_left_kernel_smallILi256EflPKPfEEvT1_S5_T2_lS5_lPKT0_lS6_lS5_l.num_agpr, 0
	.set _ZN9rocsolver6v33100L22larf_left_kernel_smallILi256EflPKPfEEvT1_S5_T2_lS5_lPKT0_lS6_lS5_l.numbered_sgpr, 34
	.set _ZN9rocsolver6v33100L22larf_left_kernel_smallILi256EflPKPfEEvT1_S5_T2_lS5_lPKT0_lS6_lS5_l.num_named_barrier, 0
	.set _ZN9rocsolver6v33100L22larf_left_kernel_smallILi256EflPKPfEEvT1_S5_T2_lS5_lPKT0_lS6_lS5_l.private_seg_size, 0
	.set _ZN9rocsolver6v33100L22larf_left_kernel_smallILi256EflPKPfEEvT1_S5_T2_lS5_lPKT0_lS6_lS5_l.uses_vcc, 1
	.set _ZN9rocsolver6v33100L22larf_left_kernel_smallILi256EflPKPfEEvT1_S5_T2_lS5_lPKT0_lS6_lS5_l.uses_flat_scratch, 1
	.set _ZN9rocsolver6v33100L22larf_left_kernel_smallILi256EflPKPfEEvT1_S5_T2_lS5_lPKT0_lS6_lS5_l.has_dyn_sized_stack, 0
	.set _ZN9rocsolver6v33100L22larf_left_kernel_smallILi256EflPKPfEEvT1_S5_T2_lS5_lPKT0_lS6_lS5_l.has_recursion, 0
	.set _ZN9rocsolver6v33100L22larf_left_kernel_smallILi256EflPKPfEEvT1_S5_T2_lS5_lPKT0_lS6_lS5_l.has_indirect_call, 0
	.section	.AMDGPU.csdata,"",@progbits
; Kernel info:
; codeLenInByte = 2016
; TotalNumSgprs: 36
; NumVgprs: 44
; ScratchSize: 0
; MemoryBound: 0
; FloatMode: 240
; IeeeMode: 1
; LDSByteSize: 9216 bytes/workgroup (compile time only)
; SGPRBlocks: 0
; VGPRBlocks: 2
; NumSGPRsForWavesPerEU: 36
; NumVGPRsForWavesPerEU: 44
; NamedBarCnt: 0
; Occupancy: 16
; WaveLimiterHint : 1
; COMPUTE_PGM_RSRC2:SCRATCH_EN: 0
; COMPUTE_PGM_RSRC2:USER_SGPR: 2
; COMPUTE_PGM_RSRC2:TRAP_HANDLER: 0
; COMPUTE_PGM_RSRC2:TGID_X_EN: 1
; COMPUTE_PGM_RSRC2:TGID_Y_EN: 1
; COMPUTE_PGM_RSRC2:TGID_Z_EN: 0
; COMPUTE_PGM_RSRC2:TIDIG_COMP_CNT: 0
	.section	.text._ZN9rocsolver6v33100L22larf_left_kernel_smallILi512EflPKPfEEvT1_S5_T2_lS5_lPKT0_lS6_lS5_l,"axG",@progbits,_ZN9rocsolver6v33100L22larf_left_kernel_smallILi512EflPKPfEEvT1_S5_T2_lS5_lPKT0_lS6_lS5_l,comdat
	.globl	_ZN9rocsolver6v33100L22larf_left_kernel_smallILi512EflPKPfEEvT1_S5_T2_lS5_lPKT0_lS6_lS5_l ; -- Begin function _ZN9rocsolver6v33100L22larf_left_kernel_smallILi512EflPKPfEEvT1_S5_T2_lS5_lPKT0_lS6_lS5_l
	.p2align	8
	.type	_ZN9rocsolver6v33100L22larf_left_kernel_smallILi512EflPKPfEEvT1_S5_T2_lS5_lPKT0_lS6_lS5_l,@function
_ZN9rocsolver6v33100L22larf_left_kernel_smallILi512EflPKPfEEvT1_S5_T2_lS5_lPKT0_lS6_lS5_l: ; @_ZN9rocsolver6v33100L22larf_left_kernel_smallILi512EflPKPfEEvT1_S5_T2_lS5_lPKT0_lS6_lS5_l
; %bb.0:
	s_clause 0x2
	s_load_b64 s[6:7], s[0:1], 0x20
	s_load_b256 s[8:15], s[0:1], 0x0
	s_load_b256 s[16:23], s[0:1], 0x30
	s_bfe_u32 s2, ttmp6, 0x4000c
	s_and_b32 s4, ttmp6, 15
	s_add_co_i32 s2, s2, 1
	s_getreg_b32 s3, hwreg(HW_REG_IB_STS2, 6, 4)
	s_mul_i32 s2, ttmp9, s2
	s_mov_b32 s5, 0
	s_add_co_i32 s4, s4, s2
	s_cmp_eq_u32 s3, 0
	s_cselect_b32 s4, ttmp9, s4
	s_wait_kmcnt 0x0
	v_cmp_gt_i64_e64 s24, s[6:7], 0
	s_and_b32 vcc_lo, exec_lo, s24
	s_mov_b64 s[24:25], 0
	s_cbranch_vccnz .LBB33_2
; %bb.1:
	s_sub_nc_u64 s[24:25], 1, s[8:9]
	s_delay_alu instid0(SALU_CYCLE_1)
	s_mul_u64 s[24:25], s[6:7], s[24:25]
.LBB33_2:
	s_load_b64 s[20:21], s[20:21], s4 offset:0x0 scale_offset
	v_mov_b32_e32 v1, 0
	v_not_b32_e32 v2, v0
	s_delay_alu instid0(VALU_DEP_2)
	v_cmp_gt_i64_e64 s2, s[8:9], v[0:1]
	s_and_saveexec_b32 s30, s2
	s_cbranch_execz .LBB33_10
; %bb.3:
	s_load_b64 s[12:13], s[12:13], s4 offset:0x0 scale_offset
	v_mov_b32_e32 v3, -1
	v_mov_b64_e32 v[8:9], v[0:1]
	s_mov_b32 s26, -1
	s_mov_b32 s31, exec_lo
	s_delay_alu instid0(VALU_DEP_2) | instskip(NEXT) | instid1(VALU_DEP_1)
	v_add_nc_u64_e32 v[4:5], s[8:9], v[2:3]
	v_cmpx_lt_u64_e32 0x1ff, v[4:5]
	s_cbranch_execz .LBB33_7
; %bb.4:
	v_lshrrev_b64 v[4:5], 9, v[4:5]
	s_lshl_b64 s[26:27], s[14:15], 2
	v_or_b32_e32 v10, 0x200, v0
	s_lshl_b64 s[28:29], s[24:25], 2
	s_wait_kmcnt 0x0
	s_add_nc_u64 s[26:27], s[12:13], s[26:27]
	s_mov_b32 s33, 0
	s_add_nc_u64 s[26:27], s[26:27], s[28:29]
	v_add_nc_u64_e32 v[4:5], 1, v[4:5]
	v_mov_b32_e32 v9, 0
	s_mov_b32 s28, s6
	s_mov_b32 s29, s7
	s_delay_alu instid0(VALU_DEP_2) | instskip(NEXT) | instid1(VALU_DEP_2)
	v_dual_mov_b32 v8, v0 :: v_dual_mov_b32 v7, v5
	v_dual_mov_b32 v11, v9 :: v_dual_bitop2_b32 v6, -2, v4 bitop3:0x40
	s_delay_alu instid0(VALU_DEP_1)
	v_mov_b64_e32 v[12:13], v[6:7]
.LBB33_5:                               ; =>This Inner Loop Header: Depth=1
	s_delay_alu instid0(VALU_DEP_3) | instskip(NEXT) | instid1(VALU_DEP_3)
	v_mul_u64_e32 v[14:15], s[6:7], v[8:9]
	v_mul_u64_e32 v[16:17], s[28:29], v[10:11]
	s_delay_alu instid0(VALU_DEP_3) | instskip(NEXT) | instid1(VALU_DEP_1)
	v_add_nc_u64_e32 v[12:13], -2, v[12:13]
	v_cmp_eq_u64_e32 vcc_lo, 0, v[12:13]
	s_or_b32 s33, vcc_lo, s33
	s_delay_alu instid0(VALU_DEP_4) | instskip(NEXT) | instid1(VALU_DEP_4)
	v_lshl_add_u64 v[14:15], v[14:15], 2, s[26:27]
	v_lshl_add_u64 v[16:17], v[16:17], 2, s[26:27]
	s_clause 0x1
	flat_load_b32 v3, v[14:15]
	flat_load_b32 v18, v[16:17]
	s_wait_xcnt 0x1
	v_dual_lshlrev_b32 v14, 2, v8 :: v_dual_lshlrev_b32 v15, 2, v10
	v_add_nc_u64_e32 v[10:11], 0x400, v[10:11]
	v_add_nc_u64_e32 v[8:9], 0x400, v[8:9]
	s_wait_loadcnt_dscnt 0x101
	ds_store_b32 v14, v3
	s_wait_loadcnt_dscnt 0x1
	ds_store_b32 v15, v18
	s_wait_xcnt 0x0
	s_and_not1_b32 exec_lo, exec_lo, s33
	s_cbranch_execnz .LBB33_5
; %bb.6:
	s_or_b32 exec_lo, exec_lo, s33
	v_lshlrev_b64_e32 v[8:9], 9, v[6:7]
	v_cmp_ne_u64_e32 vcc_lo, v[4:5], v[6:7]
	s_delay_alu instid0(VALU_DEP_2)
	v_or_b32_e32 v8, v8, v0
	s_or_not1_b32 s26, vcc_lo, exec_lo
.LBB33_7:
	s_or_b32 exec_lo, exec_lo, s31
	s_delay_alu instid0(SALU_CYCLE_1)
	s_and_b32 exec_lo, exec_lo, s26
	s_cbranch_execz .LBB33_10
; %bb.8:
	v_mul_u64_e32 v[4:5], s[6:7], v[8:9]
	s_lshl_b64 s[14:15], s[14:15], 2
	s_lshl_b64 s[24:25], s[24:25], 2
	s_wait_kmcnt 0x0
	s_add_nc_u64 s[12:13], s[12:13], s[14:15]
	v_lshlrev_b32_e32 v3, 2, v8
	s_add_nc_u64 s[12:13], s[12:13], s[24:25]
	s_lshl_b64 s[6:7], s[6:7], 11
	s_delay_alu instid0(VALU_DEP_2)
	v_lshl_add_u64 v[4:5], v[4:5], 2, s[12:13]
	s_mov_b32 s12, 0
.LBB33_9:                               ; =>This Inner Loop Header: Depth=1
	flat_load_b32 v6, v[4:5]
	v_add_nc_u64_e32 v[8:9], 0x200, v[8:9]
	s_wait_xcnt 0x0
	v_add_nc_u64_e32 v[4:5], s[6:7], v[4:5]
	s_delay_alu instid0(VALU_DEP_2)
	v_cmp_le_i64_e32 vcc_lo, s[8:9], v[8:9]
	s_or_b32 s12, vcc_lo, s12
	s_wait_loadcnt_dscnt 0x0
	ds_store_b32 v3, v6
	v_add_nc_u32_e32 v3, 0x800, v3
	s_and_not1_b32 exec_lo, exec_lo, s12
	s_cbranch_execnz .LBB33_9
.LBB33_10:
	s_or_b32 exec_lo, exec_lo, s30
	s_bfe_u32 s6, ttmp6, 0x40010
	s_bfe_u32 s7, ttmp6, 0x40004
	s_add_co_i32 s6, s6, 1
	s_wait_dscnt 0x0
	s_mul_i32 s6, ttmp7, s6
	s_barrier_signal -1
	s_add_co_i32 s6, s7, s6
	s_cmp_eq_u32 s3, 0
	s_mov_b32 s7, 0
	s_cselect_b32 s6, ttmp7, s6
	s_barrier_wait -1
	v_cmp_le_i64_e64 s3, s[10:11], s[6:7]
	s_and_b32 vcc_lo, exec_lo, s3
	s_cbranch_vccnz .LBB33_39
; %bb.11:
	v_mov_b32_e32 v3, -1
	s_load_b64 s[26:27], s[0:1], 0x50
	s_wait_xcnt 0x0
	s_mul_u64 s[4:5], s[18:19], s[4:5]
	v_lshrrev_b32_e32 v32, 3, v0
	s_lshl_b64 s[4:5], s[4:5], 2
	v_add_nc_u64_e32 v[6:7], s[8:9], v[2:3]
	v_mov_b32_e32 v3, 0
	s_cmp_gt_i32 s8, 1
	s_wait_kmcnt 0x0
	s_add_nc_u64 s[12:13], s[16:17], s[4:5]
	s_cselect_b32 s24, -1, 0
	s_lshl_b64 s[16:17], s[22:23], 2
	v_dual_mov_b32 v11, v3 :: v_dual_lshlrev_b32 v10, 2, v0
	v_lshrrev_b64 v[8:9], 9, v[6:7]
	s_mov_b64 s[14:15], 0x3fffffffffffffff
	v_lshlrev_b64_e32 v[14:15], 2, v[6:7]
	v_cmp_lt_u64_e32 vcc_lo, s[14:15], v[6:7]
	v_and_b32_e32 v2, 31, v0
	v_mbcnt_lo_u32_b32 v33, -1, 0
	v_cmp_gt_u64_e64 s25, 0x600, v[6:7]
	v_add_nc_u64_e32 v[8:9], 1, v[8:9]
	s_mul_u64 s[18:19], s[26:27], s[6:7]
	v_cmp_lt_u64_e64 s4, 0x5ff, v[6:7]
	s_add_nc_u64 s[22:23], s[18:19], s[22:23]
	s_lshl_b64 s[18:19], s[18:19], 2
	v_add_nc_u64_e32 v[20:21], s[22:23], v[0:1]
	s_add_nc_u64 s[16:17], s[18:19], s[16:17]
	v_dual_mov_b32 v13, v9 :: v_dual_bitop2_b32 v12, -2, v8 bitop3:0x40
	s_add_nc_u64 s[14:15], s[20:21], s[16:17]
	v_cmp_gt_i32_e64 s0, s8, v0
	v_add_nc_u64_e32 v[18:19], s[14:15], v[10:11]
	v_cmp_eq_u32_e64 s1, 0, v0
	v_lshlrev_b64_e32 v[16:17], 9, v[12:13]
	v_cmp_ne_u64_e64 s5, v[8:9], v[12:13]
	v_or_b32_e32 v4, 0x200, v0
	v_cmp_eq_u32_e64 s3, 0, v2
	v_and_b32_e32 v14, 0xfffff800, v14
	v_mov_b32_e32 v5, v3
	v_add_nc_u64_e32 v[22:23], 0x800, v[18:19]
	v_or_b32_e32 v16, v16, v0
	v_lshl_add_u64 v[20:21], v[20:21], 2, s[20:21]
	v_dual_mov_b32 v2, v0 :: v_dual_lshlrev_b32 v34, 2, v0
	v_lshl_or_b32 v35, v33, 2, 64
	s_delay_alu instid0(VALU_DEP_4)
	v_lshlrev_b64_e32 v[24:25], 2, v[16:17]
	v_mov_b32_e32 v36, 0x2004
	v_mov_b32_e32 v37, 0x200c
	;; [unrolled: 1-line block ×7, first 2 shown]
	s_lshl_b64 s[16:17], s[26:27], 8
	s_mov_b64 s[18:19], 0
	s_xor_b32 s20, vcc_lo, -1
	s_branch .LBB33_13
.LBB33_12:                              ;   in Loop: Header=BB33_13 Depth=1
	s_or_b32 exec_lo, exec_lo, s21
	s_add_nc_u64 s[6:7], s[6:7], 64
	v_add_nc_u64_e32 v[18:19], s[16:17], v[18:19]
	v_cmp_ge_i64_e64 s21, s[6:7], s[10:11]
	v_add_nc_u64_e32 v[22:23], s[16:17], v[22:23]
	s_add_nc_u64 s[18:19], s[18:19], 1
	s_add_nc_u64 s[14:15], s[14:15], s[16:17]
	s_and_b32 vcc_lo, exec_lo, s21
	s_cbranch_vccnz .LBB33_39
.LBB33_13:                              ; =>This Loop Header: Depth=1
                                        ;     Child Loop BB33_15 Depth 2
                                        ;     Child Loop BB33_31 Depth 2
	;; [unrolled: 1-line block ×3, first 2 shown]
	v_mov_b32_e32 v8, 0
	s_and_saveexec_b32 s21, s0
	s_cbranch_execz .LBB33_17
; %bb.14:                               ;   in Loop: Header=BB33_13 Depth=1
	v_mov_b64_e32 v[6:7], v[18:19]
	v_dual_mov_b32 v8, 0 :: v_dual_mov_b32 v9, v34
	v_mov_b32_e32 v26, v0
	s_mov_b32 s22, 0
.LBB33_15:                              ;   Parent Loop BB33_13 Depth=1
                                        ; =>  This Inner Loop Header: Depth=2
	flat_load_b32 v27, v[6:7]
	ds_load_b32 v28, v9
	v_add_nc_u32_e32 v26, 0x200, v26
	s_wait_xcnt 0x0
	v_add_nc_u64_e32 v[6:7], 0x800, v[6:7]
	v_add_nc_u32_e32 v9, 0x800, v9
	s_delay_alu instid0(VALU_DEP_3)
	v_cmp_le_i32_e32 vcc_lo, s8, v26
	s_or_b32 s22, vcc_lo, s22
	s_wait_loadcnt_dscnt 0x0
	v_fmac_f32_e32 v8, v28, v27
	s_and_not1_b32 exec_lo, exec_lo, s22
	s_cbranch_execnz .LBB33_15
; %bb.16:                               ;   in Loop: Header=BB33_13 Depth=1
	s_or_b32 exec_lo, exec_lo, s22
.LBB33_17:                              ;   in Loop: Header=BB33_13 Depth=1
	s_delay_alu instid0(SALU_CYCLE_1) | instskip(NEXT) | instid1(SALU_CYCLE_1)
	s_or_b32 exec_lo, exec_lo, s21
	s_and_b32 vcc_lo, exec_lo, s24
	s_cbranch_vccz .LBB33_24
; %bb.18:                               ;   in Loop: Header=BB33_13 Depth=1
	v_cmp_ne_u32_e32 vcc_lo, 31, v33
	v_add_co_ci_u32_e64 v6, null, 0, v33, vcc_lo
	v_cmp_gt_u32_e32 vcc_lo, 30, v33
	s_delay_alu instid0(VALU_DEP_2)
	v_lshlrev_b32_e32 v6, 2, v6
	v_cndmask_b32_e64 v7, 0, 2, vcc_lo
	v_cmp_gt_u32_e32 vcc_lo, 28, v33
	ds_bpermute_b32 v6, v6, v8
	v_add_lshl_u32 v7, v7, v33, 2
	v_cndmask_b32_e64 v9, 0, 4, vcc_lo
	v_cmp_gt_u32_e32 vcc_lo, 24, v33
	s_delay_alu instid0(VALU_DEP_2)
	v_add_lshl_u32 v9, v9, v33, 2
	s_wait_dscnt 0x0
	v_add_f32_e32 v6, v8, v6
	ds_bpermute_b32 v7, v7, v6
	s_wait_dscnt 0x0
	v_add_f32_e32 v6, v6, v7
	ds_bpermute_b32 v7, v9, v6
	v_cndmask_b32_e64 v9, 0, 8, vcc_lo
	s_wait_dscnt 0x0
	v_add_f32_e32 v6, v6, v7
	s_delay_alu instid0(VALU_DEP_2)
	v_add_lshl_u32 v7, v9, v33, 2
	ds_bpermute_b32 v7, v7, v6
	s_wait_dscnt 0x0
	v_add_f32_e32 v6, v6, v7
	ds_bpermute_b32 v7, v35, v6
	s_wait_dscnt 0x0
	v_add_f32_e32 v6, v6, v7
	s_and_saveexec_b32 s21, s3
; %bb.19:                               ;   in Loop: Header=BB33_13 Depth=1
	ds_store_b32 v32, v6 offset:8192
; %bb.20:                               ;   in Loop: Header=BB33_13 Depth=1
	s_or_b32 exec_lo, exec_lo, s21
	s_mov_b32 s22, 0
	s_mov_b32 s21, 0
	s_wait_dscnt 0x0
	s_barrier_signal -1
	s_barrier_wait -1
                                        ; implicit-def: $vgpr7
	s_and_saveexec_b32 s23, s1
	s_delay_alu instid0(SALU_CYCLE_1)
	s_xor_b32 s23, exec_lo, s23
	s_cbranch_execz .LBB33_22
; %bb.21:                               ;   in Loop: Header=BB33_13 Depth=1
	ds_load_2addr_b32 v[26:27], v36 offset1:1
	ds_load_2addr_b32 v[28:29], v37 offset1:1
	;; [unrolled: 1-line block ×4, first 2 shown]
	s_mov_b32 s21, exec_lo
	s_wait_dscnt 0x3
	v_add_f32_e32 v6, v6, v26
	s_delay_alu instid0(VALU_DEP_1) | instskip(SKIP_3) | instid1(VALU_DEP_1)
	v_add_f32_e32 v6, v6, v27
	ds_load_2addr_b32 v[26:27], v41 offset1:1
	s_wait_dscnt 0x3
	v_add_f32_e32 v6, v6, v28
	v_add_f32_e32 v6, v6, v29
	s_wait_dscnt 0x2
	s_delay_alu instid0(VALU_DEP_1)
	v_add_f32_e32 v9, v6, v30
	ds_load_2addr_b32 v[6:7], v40 offset1:1
	ds_load_2addr_b32 v[28:29], v42 offset1:1
	ds_load_b32 v30, v3 offset:8252
	v_add_f32_e32 v9, v9, v31
	s_wait_dscnt 0x4
	s_delay_alu instid0(VALU_DEP_1) | instskip(NEXT) | instid1(VALU_DEP_1)
	v_add_f32_e32 v9, v9, v44
	v_add_f32_e32 v9, v9, v45
	s_wait_dscnt 0x2
	s_delay_alu instid0(VALU_DEP_1) | instskip(NEXT) | instid1(VALU_DEP_1)
	v_add_f32_e32 v6, v9, v6
	v_add_f32_e32 v6, v6, v7
	s_delay_alu instid0(VALU_DEP_1) | instskip(NEXT) | instid1(VALU_DEP_1)
	v_add_f32_e32 v6, v6, v26
	v_add_f32_e32 v6, v6, v27
	s_wait_dscnt 0x1
	s_delay_alu instid0(VALU_DEP_1) | instskip(NEXT) | instid1(VALU_DEP_1)
	v_add_f32_e32 v6, v6, v28
	v_add_f32_e32 v6, v6, v29
	s_wait_dscnt 0x0
	s_delay_alu instid0(VALU_DEP_1)
	v_add_f32_e32 v7, v6, v30
.LBB33_22:                              ;   in Loop: Header=BB33_13 Depth=1
	s_or_b32 exec_lo, exec_lo, s23
	s_delay_alu instid0(SALU_CYCLE_1)
	s_and_b32 vcc_lo, exec_lo, s22
	s_cbranch_vccnz .LBB33_25
.LBB33_23:                              ;   in Loop: Header=BB33_13 Depth=1
	s_delay_alu instid0(VALU_DEP_1)
	v_mov_b32_e32 v8, v7
	s_and_saveexec_b32 s22, s21
	s_cbranch_execnz .LBB33_26
	s_branch .LBB33_27
.LBB33_24:                              ;   in Loop: Header=BB33_13 Depth=1
	s_mov_b32 s21, 0
                                        ; implicit-def: $vgpr7
	s_cbranch_execz .LBB33_23
.LBB33_25:                              ;   in Loop: Header=BB33_13 Depth=1
	s_and_not1_b32 s21, s21, exec_lo
	s_and_b32 s22, s1, exec_lo
	s_delay_alu instid0(SALU_CYCLE_1) | instskip(NEXT) | instid1(SALU_CYCLE_1)
	s_or_b32 s21, s21, s22
	s_and_saveexec_b32 s22, s21
.LBB33_26:                              ;   in Loop: Header=BB33_13 Depth=1
	ds_store_b32 v3, v8 offset:8192
.LBB33_27:                              ;   in Loop: Header=BB33_13 Depth=1
	s_or_b32 exec_lo, exec_lo, s22
	s_wait_dscnt 0x0
	s_barrier_signal -1
	s_barrier_wait -1
	s_and_saveexec_b32 s21, s2
	s_cbranch_execz .LBB33_12
; %bb.28:                               ;   in Loop: Header=BB33_13 Depth=1
	global_load_b32 v6, v3, s[12:13]
	ds_load_b32 v8, v3 offset:8192
	s_mov_b32 s23, s25
	s_wait_loadcnt 0x0
	v_xor_b32_e32 v9, 0x80000000, v6
	v_mov_b64_e32 v[6:7], v[0:1]
	s_wait_dscnt 0x0
	s_delay_alu instid0(VALU_DEP_2)
	v_mul_f32_e32 v26, v8, v9
	v_mov_b64_e32 v[8:9], v[10:11]
	s_wait_xcnt 0x0
	s_and_saveexec_b32 s22, s4
	s_cbranch_execz .LBB33_36
; %bb.29:                               ;   in Loop: Header=BB33_13 Depth=1
	v_mad_nc_u64_u32 v[6:7], s16, s18, v[20:21]
	s_mul_i32 s23, s17, s18
	s_mul_i32 s26, s16, s19
	s_delay_alu instid0(VALU_DEP_1) | instid1(SALU_CYCLE_1)
	v_add3_u32 v7, s26, s23, v7
	s_mov_b32 s26, -1
	s_delay_alu instid0(VALU_DEP_1) | instskip(NEXT) | instid1(VALU_DEP_1)
	v_add_nc_u64_e32 v[8:9], v[6:7], v[14:15]
	v_cmp_ge_u64_e32 vcc_lo, v[8:9], v[6:7]
	v_mov_b64_e32 v[6:7], v[0:1]
	v_mov_b64_e32 v[8:9], v[10:11]
	s_and_b32 s27, vcc_lo, s20
	s_delay_alu instid0(SALU_CYCLE_1)
	s_and_saveexec_b32 s23, s27
	s_cbranch_execz .LBB33_35
; %bb.30:                               ;   in Loop: Header=BB33_13 Depth=1
	v_mov_b64_e32 v[8:9], v[4:5]
	v_mov_b64_e32 v[28:29], v[12:13]
	;; [unrolled: 1-line block ×4, first 2 shown]
	v_mov_b32_e32 v27, v26
	s_mov_b32 s26, 0
.LBB33_31:                              ;   Parent Loop BB33_13 Depth=1
                                        ; =>  This Inner Loop Header: Depth=2
	s_clause 0x1
	flat_load_b32 v44, v[30:31] offset:-2048
	flat_load_b32 v45, v[30:31]
	v_dual_lshlrev_b32 v43, 2, v6 :: v_dual_lshlrev_b32 v47, 2, v8
	v_add_nc_u64_e32 v[28:29], -2, v[28:29]
	v_add_nc_u64_e32 v[8:9], 0x400, v[8:9]
	ds_load_b32 v46, v43
	ds_load_b32 v47, v47
	v_add_nc_u64_e32 v[6:7], 0x400, v[6:7]
	v_cmp_eq_u64_e32 vcc_lo, 0, v[28:29]
	s_or_b32 s26, vcc_lo, s26
	s_wait_loadcnt_dscnt 0x0
	v_pk_fma_f32 v[44:45], v[26:27], v[46:47], v[44:45]
	s_clause 0x1
	flat_store_b32 v[30:31], v44 offset:-2048
	flat_store_b32 v[30:31], v45
	s_wait_xcnt 0x0
	v_add_nc_u64_e32 v[30:31], 0x1000, v[30:31]
	s_and_not1_b32 exec_lo, exec_lo, s26
	s_cbranch_execnz .LBB33_31
; %bb.32:                               ;   in Loop: Header=BB33_13 Depth=1
	s_or_b32 exec_lo, exec_lo, s26
	s_mov_b32 s26, 0
	s_and_saveexec_b32 s27, s5
; %bb.33:                               ;   in Loop: Header=BB33_13 Depth=1
	s_mov_b32 s26, exec_lo
; %bb.34:                               ;   in Loop: Header=BB33_13 Depth=1
	s_or_b32 exec_lo, exec_lo, s27
	v_mov_b64_e32 v[6:7], v[16:17]
	v_mov_b64_e32 v[8:9], v[24:25]
	s_or_not1_b32 s26, s26, exec_lo
.LBB33_35:                              ;   in Loop: Header=BB33_13 Depth=1
	s_or_b32 exec_lo, exec_lo, s23
	s_delay_alu instid0(SALU_CYCLE_1) | instskip(SKIP_1) | instid1(SALU_CYCLE_1)
	s_and_not1_b32 s23, s25, exec_lo
	s_and_b32 s26, s26, exec_lo
	s_or_b32 s23, s23, s26
.LBB33_36:                              ;   in Loop: Header=BB33_13 Depth=1
	s_or_b32 exec_lo, exec_lo, s22
	s_delay_alu instid0(SALU_CYCLE_1)
	s_and_b32 exec_lo, exec_lo, s23
	s_cbranch_execz .LBB33_12
; %bb.37:                               ;   in Loop: Header=BB33_13 Depth=1
	v_add_nc_u64_e32 v[8:9], s[14:15], v[8:9]
	v_lshlrev_b32_e32 v27, 2, v6
	s_mov_b32 s22, 0
.LBB33_38:                              ;   Parent Loop BB33_13 Depth=1
                                        ; =>  This Inner Loop Header: Depth=2
	flat_load_b32 v28, v[8:9]
	ds_load_b32 v29, v27
	v_add_nc_u64_e32 v[6:7], 0x200, v[6:7]
	v_add_nc_u32_e32 v27, 0x800, v27
	s_delay_alu instid0(VALU_DEP_2)
	v_cmp_le_i64_e32 vcc_lo, s[8:9], v[6:7]
	s_or_b32 s22, vcc_lo, s22
	s_wait_loadcnt_dscnt 0x0
	v_fmac_f32_e32 v28, v26, v29
	flat_store_b32 v[8:9], v28
	s_wait_xcnt 0x0
	v_add_nc_u64_e32 v[8:9], 0x800, v[8:9]
	s_and_not1_b32 exec_lo, exec_lo, s22
	s_cbranch_execnz .LBB33_38
	s_branch .LBB33_12
.LBB33_39:
	s_endpgm
	.section	.rodata,"a",@progbits
	.p2align	6, 0x0
	.amdhsa_kernel _ZN9rocsolver6v33100L22larf_left_kernel_smallILi512EflPKPfEEvT1_S5_T2_lS5_lPKT0_lS6_lS5_l
		.amdhsa_group_segment_fixed_size 10240
		.amdhsa_private_segment_fixed_size 0
		.amdhsa_kernarg_size 96
		.amdhsa_user_sgpr_count 2
		.amdhsa_user_sgpr_dispatch_ptr 0
		.amdhsa_user_sgpr_queue_ptr 0
		.amdhsa_user_sgpr_kernarg_segment_ptr 1
		.amdhsa_user_sgpr_dispatch_id 0
		.amdhsa_user_sgpr_kernarg_preload_length 0
		.amdhsa_user_sgpr_kernarg_preload_offset 0
		.amdhsa_user_sgpr_private_segment_size 0
		.amdhsa_wavefront_size32 1
		.amdhsa_uses_dynamic_stack 0
		.amdhsa_enable_private_segment 0
		.amdhsa_system_sgpr_workgroup_id_x 1
		.amdhsa_system_sgpr_workgroup_id_y 1
		.amdhsa_system_sgpr_workgroup_id_z 0
		.amdhsa_system_sgpr_workgroup_info 0
		.amdhsa_system_vgpr_workitem_id 0
		.amdhsa_next_free_vgpr 48
		.amdhsa_next_free_sgpr 34
		.amdhsa_named_barrier_count 0
		.amdhsa_reserve_vcc 1
		.amdhsa_float_round_mode_32 0
		.amdhsa_float_round_mode_16_64 0
		.amdhsa_float_denorm_mode_32 3
		.amdhsa_float_denorm_mode_16_64 3
		.amdhsa_fp16_overflow 0
		.amdhsa_memory_ordered 1
		.amdhsa_forward_progress 1
		.amdhsa_inst_pref_size 17
		.amdhsa_round_robin_scheduling 0
		.amdhsa_exception_fp_ieee_invalid_op 0
		.amdhsa_exception_fp_denorm_src 0
		.amdhsa_exception_fp_ieee_div_zero 0
		.amdhsa_exception_fp_ieee_overflow 0
		.amdhsa_exception_fp_ieee_underflow 0
		.amdhsa_exception_fp_ieee_inexact 0
		.amdhsa_exception_int_div_zero 0
	.end_amdhsa_kernel
	.section	.text._ZN9rocsolver6v33100L22larf_left_kernel_smallILi512EflPKPfEEvT1_S5_T2_lS5_lPKT0_lS6_lS5_l,"axG",@progbits,_ZN9rocsolver6v33100L22larf_left_kernel_smallILi512EflPKPfEEvT1_S5_T2_lS5_lPKT0_lS6_lS5_l,comdat
.Lfunc_end33:
	.size	_ZN9rocsolver6v33100L22larf_left_kernel_smallILi512EflPKPfEEvT1_S5_T2_lS5_lPKT0_lS6_lS5_l, .Lfunc_end33-_ZN9rocsolver6v33100L22larf_left_kernel_smallILi512EflPKPfEEvT1_S5_T2_lS5_lPKT0_lS6_lS5_l
                                        ; -- End function
	.set _ZN9rocsolver6v33100L22larf_left_kernel_smallILi512EflPKPfEEvT1_S5_T2_lS5_lPKT0_lS6_lS5_l.num_vgpr, 48
	.set _ZN9rocsolver6v33100L22larf_left_kernel_smallILi512EflPKPfEEvT1_S5_T2_lS5_lPKT0_lS6_lS5_l.num_agpr, 0
	.set _ZN9rocsolver6v33100L22larf_left_kernel_smallILi512EflPKPfEEvT1_S5_T2_lS5_lPKT0_lS6_lS5_l.numbered_sgpr, 34
	.set _ZN9rocsolver6v33100L22larf_left_kernel_smallILi512EflPKPfEEvT1_S5_T2_lS5_lPKT0_lS6_lS5_l.num_named_barrier, 0
	.set _ZN9rocsolver6v33100L22larf_left_kernel_smallILi512EflPKPfEEvT1_S5_T2_lS5_lPKT0_lS6_lS5_l.private_seg_size, 0
	.set _ZN9rocsolver6v33100L22larf_left_kernel_smallILi512EflPKPfEEvT1_S5_T2_lS5_lPKT0_lS6_lS5_l.uses_vcc, 1
	.set _ZN9rocsolver6v33100L22larf_left_kernel_smallILi512EflPKPfEEvT1_S5_T2_lS5_lPKT0_lS6_lS5_l.uses_flat_scratch, 1
	.set _ZN9rocsolver6v33100L22larf_left_kernel_smallILi512EflPKPfEEvT1_S5_T2_lS5_lPKT0_lS6_lS5_l.has_dyn_sized_stack, 0
	.set _ZN9rocsolver6v33100L22larf_left_kernel_smallILi512EflPKPfEEvT1_S5_T2_lS5_lPKT0_lS6_lS5_l.has_recursion, 0
	.set _ZN9rocsolver6v33100L22larf_left_kernel_smallILi512EflPKPfEEvT1_S5_T2_lS5_lPKT0_lS6_lS5_l.has_indirect_call, 0
	.section	.AMDGPU.csdata,"",@progbits
; Kernel info:
; codeLenInByte = 2140
; TotalNumSgprs: 36
; NumVgprs: 48
; ScratchSize: 0
; MemoryBound: 0
; FloatMode: 240
; IeeeMode: 1
; LDSByteSize: 10240 bytes/workgroup (compile time only)
; SGPRBlocks: 0
; VGPRBlocks: 2
; NumSGPRsForWavesPerEU: 36
; NumVGPRsForWavesPerEU: 48
; NamedBarCnt: 0
; Occupancy: 16
; WaveLimiterHint : 1
; COMPUTE_PGM_RSRC2:SCRATCH_EN: 0
; COMPUTE_PGM_RSRC2:USER_SGPR: 2
; COMPUTE_PGM_RSRC2:TRAP_HANDLER: 0
; COMPUTE_PGM_RSRC2:TGID_X_EN: 1
; COMPUTE_PGM_RSRC2:TGID_Y_EN: 1
; COMPUTE_PGM_RSRC2:TGID_Z_EN: 0
; COMPUTE_PGM_RSRC2:TIDIG_COMP_CNT: 0
	.section	.text._ZN9rocsolver6v33100L22larf_left_kernel_smallILi1024EflPKPfEEvT1_S5_T2_lS5_lPKT0_lS6_lS5_l,"axG",@progbits,_ZN9rocsolver6v33100L22larf_left_kernel_smallILi1024EflPKPfEEvT1_S5_T2_lS5_lPKT0_lS6_lS5_l,comdat
	.globl	_ZN9rocsolver6v33100L22larf_left_kernel_smallILi1024EflPKPfEEvT1_S5_T2_lS5_lPKT0_lS6_lS5_l ; -- Begin function _ZN9rocsolver6v33100L22larf_left_kernel_smallILi1024EflPKPfEEvT1_S5_T2_lS5_lPKT0_lS6_lS5_l
	.p2align	8
	.type	_ZN9rocsolver6v33100L22larf_left_kernel_smallILi1024EflPKPfEEvT1_S5_T2_lS5_lPKT0_lS6_lS5_l,@function
_ZN9rocsolver6v33100L22larf_left_kernel_smallILi1024EflPKPfEEvT1_S5_T2_lS5_lPKT0_lS6_lS5_l: ; @_ZN9rocsolver6v33100L22larf_left_kernel_smallILi1024EflPKPfEEvT1_S5_T2_lS5_lPKT0_lS6_lS5_l
; %bb.0:
	s_clause 0x2
	s_load_b64 s[6:7], s[0:1], 0x20
	s_load_b256 s[8:15], s[0:1], 0x0
	s_load_b256 s[16:23], s[0:1], 0x30
	s_bfe_u32 s2, ttmp6, 0x4000c
	s_and_b32 s4, ttmp6, 15
	s_add_co_i32 s2, s2, 1
	s_getreg_b32 s3, hwreg(HW_REG_IB_STS2, 6, 4)
	s_mul_i32 s2, ttmp9, s2
	s_mov_b32 s5, 0
	s_add_co_i32 s4, s4, s2
	s_cmp_eq_u32 s3, 0
	s_cselect_b32 s4, ttmp9, s4
	s_wait_kmcnt 0x0
	v_cmp_gt_i64_e64 s24, s[6:7], 0
	s_and_b32 vcc_lo, exec_lo, s24
	s_mov_b64 s[24:25], 0
	s_cbranch_vccnz .LBB34_2
; %bb.1:
	s_sub_nc_u64 s[24:25], 1, s[8:9]
	s_delay_alu instid0(SALU_CYCLE_1)
	s_mul_u64 s[24:25], s[6:7], s[24:25]
.LBB34_2:
	s_load_b64 s[20:21], s[20:21], s4 offset:0x0 scale_offset
	v_mov_b32_e32 v1, 0
	v_not_b32_e32 v6, v0
	s_delay_alu instid0(VALU_DEP_2)
	v_cmp_gt_i64_e64 s2, s[8:9], v[0:1]
	s_and_saveexec_b32 s30, s2
	s_cbranch_execz .LBB34_10
; %bb.3:
	s_load_b64 s[12:13], s[12:13], s4 offset:0x0 scale_offset
	v_mov_b32_e32 v7, -1
	v_mov_b64_e32 v[2:3], v[0:1]
	s_mov_b32 s26, -1
	s_mov_b32 s31, exec_lo
	s_delay_alu instid0(VALU_DEP_2) | instskip(NEXT) | instid1(VALU_DEP_1)
	v_add_nc_u64_e32 v[4:5], s[8:9], v[6:7]
	v_cmpx_lt_u64_e32 0x3ff, v[4:5]
	s_cbranch_execz .LBB34_7
; %bb.4:
	v_lshrrev_b64 v[2:3], 10, v[4:5]
	s_lshl_b64 s[26:27], s[14:15], 2
	s_lshl_b64 s[28:29], s[24:25], 2
	s_wait_kmcnt 0x0
	s_add_nc_u64 s[26:27], s[12:13], s[26:27]
	s_mov_b32 s33, 0
	s_add_nc_u64 s[26:27], s[26:27], s[28:29]
	s_mov_b32 s28, s6
	v_add_nc_u64_e32 v[8:9], 1, v[2:3]
	v_or_b32_e32 v2, 0x400, v0
	v_mov_b32_e32 v3, v1
	s_mov_b32 s29, s7
	s_delay_alu instid0(VALU_DEP_1) | instskip(NEXT) | instid1(VALU_DEP_4)
	v_mov_b64_e32 v[4:5], v[2:3]
	v_dual_mov_b32 v11, v9 :: v_dual_bitop2_b32 v10, -2, v8 bitop3:0x40
	v_mov_b64_e32 v[2:3], v[0:1]
	s_delay_alu instid0(VALU_DEP_2)
	v_mov_b64_e32 v[12:13], v[10:11]
.LBB34_5:                               ; =>This Inner Loop Header: Depth=1
	s_delay_alu instid0(VALU_DEP_2) | instskip(SKIP_1) | instid1(VALU_DEP_3)
	v_mul_u64_e32 v[14:15], s[6:7], v[2:3]
	v_mul_u64_e32 v[16:17], s[28:29], v[4:5]
	v_add_nc_u64_e32 v[12:13], -2, v[12:13]
	s_delay_alu instid0(VALU_DEP_1) | instskip(SKIP_1) | instid1(VALU_DEP_4)
	v_cmp_eq_u64_e32 vcc_lo, 0, v[12:13]
	s_or_b32 s33, vcc_lo, s33
	v_lshl_add_u64 v[14:15], v[14:15], 2, s[26:27]
	s_delay_alu instid0(VALU_DEP_4)
	v_lshl_add_u64 v[16:17], v[16:17], 2, s[26:27]
	s_clause 0x1
	flat_load_b32 v7, v[14:15]
	flat_load_b32 v18, v[16:17]
	s_wait_xcnt 0x1
	v_dual_lshlrev_b32 v14, 2, v2 :: v_dual_lshlrev_b32 v15, 2, v4
	v_add_nc_u64_e32 v[4:5], 0x800, v[4:5]
	v_add_nc_u64_e32 v[2:3], 0x800, v[2:3]
	s_wait_loadcnt_dscnt 0x101
	ds_store_b32 v14, v7
	s_wait_loadcnt_dscnt 0x1
	ds_store_b32 v15, v18
	s_wait_xcnt 0x0
	s_and_not1_b32 exec_lo, exec_lo, s33
	s_cbranch_execnz .LBB34_5
; %bb.6:
	s_or_b32 exec_lo, exec_lo, s33
	v_lshlrev_b64_e32 v[2:3], 10, v[10:11]
	v_cmp_ne_u64_e32 vcc_lo, v[8:9], v[10:11]
	s_delay_alu instid0(VALU_DEP_2)
	v_or_b32_e32 v2, v2, v0
	s_or_not1_b32 s26, vcc_lo, exec_lo
.LBB34_7:
	s_or_b32 exec_lo, exec_lo, s31
	s_delay_alu instid0(SALU_CYCLE_1)
	s_and_b32 exec_lo, exec_lo, s26
	s_cbranch_execz .LBB34_10
; %bb.8:
	v_mul_u64_e32 v[4:5], s[6:7], v[2:3]
	s_lshl_b64 s[14:15], s[14:15], 2
	s_lshl_b64 s[24:25], s[24:25], 2
	s_wait_kmcnt 0x0
	s_add_nc_u64 s[12:13], s[12:13], s[14:15]
	v_lshlrev_b32_e32 v7, 2, v2
	s_add_nc_u64 s[12:13], s[12:13], s[24:25]
	s_lshl_b64 s[6:7], s[6:7], 12
	s_delay_alu instid0(VALU_DEP_2)
	v_lshl_add_u64 v[4:5], v[4:5], 2, s[12:13]
	s_mov_b32 s12, 0
.LBB34_9:                               ; =>This Inner Loop Header: Depth=1
	flat_load_b32 v8, v[4:5]
	v_add_nc_u64_e32 v[2:3], 0x400, v[2:3]
	s_wait_xcnt 0x0
	v_add_nc_u64_e32 v[4:5], s[6:7], v[4:5]
	s_delay_alu instid0(VALU_DEP_2)
	v_cmp_le_i64_e32 vcc_lo, s[8:9], v[2:3]
	s_or_b32 s12, vcc_lo, s12
	s_wait_loadcnt_dscnt 0x0
	ds_store_b32 v7, v8
	v_add_nc_u32_e32 v7, 0x1000, v7
	s_and_not1_b32 exec_lo, exec_lo, s12
	s_cbranch_execnz .LBB34_9
.LBB34_10:
	s_or_b32 exec_lo, exec_lo, s30
	s_bfe_u32 s6, ttmp6, 0x40010
	s_bfe_u32 s7, ttmp6, 0x40004
	s_add_co_i32 s6, s6, 1
	s_wait_dscnt 0x0
	s_mul_i32 s6, ttmp7, s6
	s_barrier_signal -1
	s_add_co_i32 s6, s7, s6
	s_cmp_eq_u32 s3, 0
	s_mov_b32 s7, 0
	s_cselect_b32 s6, ttmp7, s6
	s_barrier_wait -1
	v_cmp_le_i64_e64 s3, s[10:11], s[6:7]
	s_and_b32 vcc_lo, exec_lo, s3
	s_cbranch_vccnz .LBB34_39
; %bb.11:
	v_dual_mov_b32 v7, -1 :: v_dual_bitop2_b32 v3, 31, v0 bitop3:0x40
	s_load_b64 s[26:27], s[0:1], 0x50
	s_wait_xcnt 0x0
	s_mul_u64 s[4:5], s[18:19], s[4:5]
	v_dual_lshrrev_b32 v30, 3, v0 :: v_dual_lshlrev_b32 v8, 2, v0
	v_add_nc_u64_e32 v[4:5], s[8:9], v[6:7]
	s_lshl_b64 s[4:5], s[4:5], 2
	s_cmp_gt_i32 s8, 1
	s_wait_kmcnt 0x0
	s_add_nc_u64 s[12:13], s[16:17], s[4:5]
	s_cselect_b32 s24, -1, 0
	s_lshl_b64 s[4:5], s[22:23], 2
	s_mov_b64 s[18:19], 0x3fffffffffffffff
	v_lshrrev_b64 v[6:7], 10, v[4:5]
	v_lshlrev_b64_e32 v[10:11], 2, v[4:5]
	v_mbcnt_lo_u32_b32 v31, -1, 0
	v_cmp_lt_u64_e32 vcc_lo, s[18:19], v[4:5]
	v_cmp_gt_u64_e64 s25, 0xc00, v[4:5]
	v_cmp_gt_i32_e64 s0, s8, v0
	v_cmp_eq_u32_e64 s1, 0, v0
	v_add_nc_u64_e32 v[6:7], 1, v[6:7]
	v_mov_b32_e32 v9, 0
	s_mul_u64 s[14:15], s[26:27], s[6:7]
	v_or_b32_e32 v2, 0x400, v0
	s_add_nc_u64 s[16:17], s[14:15], s[22:23]
	s_lshl_b64 s[14:15], s[14:15], 2
	v_add_nc_u64_e32 v[18:19], s[16:17], v[0:1]
	v_dual_mov_b32 v13, v7 :: v_dual_bitop2_b32 v12, -2, v6 bitop3:0x40
	s_add_nc_u64 s[14:15], s[14:15], s[4:5]
	v_cmp_lt_u64_e64 s4, 0xbff, v[4:5]
	s_add_nc_u64 s[14:15], s[20:21], s[14:15]
	v_cmp_eq_u32_e64 s3, 0, v3
	v_lshlrev_b64_e32 v[14:15], 10, v[12:13]
	v_add_nc_u64_e32 v[16:17], s[14:15], v[8:9]
	v_and_b32_e32 v10, 0xfffff000, v10
	v_lshl_add_u64 v[18:19], v[18:19], 2, s[20:21]
	v_dual_mov_b32 v3, v1 :: v_dual_lshlrev_b32 v32, 2, v0
	v_lshl_or_b32 v33, v31, 2, 64
	v_or_b32_e32 v14, v14, v0
	v_cmp_ne_u64_e64 s5, v[6:7], v[12:13]
	v_add_nc_u64_e32 v[20:21], 0x1000, v[16:17]
	v_mov_b32_e32 v34, 0x2004
	v_mov_b32_e32 v35, 0x200c
	v_lshlrev_b64_e32 v[22:23], 2, v[14:15]
	v_mov_b32_e32 v36, 0x2014
	v_mov_b32_e32 v37, 0x201c
	;; [unrolled: 1-line block ×13, first 2 shown]
	s_lshl_b64 s[16:17], s[26:27], 8
	s_mov_b64 s[18:19], 0
	s_xor_b32 s20, vcc_lo, -1
	s_branch .LBB34_13
.LBB34_12:                              ;   in Loop: Header=BB34_13 Depth=1
	s_or_b32 exec_lo, exec_lo, s21
	s_add_nc_u64 s[6:7], s[6:7], 64
	v_add_nc_u64_e32 v[16:17], s[16:17], v[16:17]
	v_cmp_ge_i64_e64 s21, s[6:7], s[10:11]
	v_add_nc_u64_e32 v[20:21], s[16:17], v[20:21]
	s_add_nc_u64 s[18:19], s[18:19], 1
	s_add_nc_u64 s[14:15], s[14:15], s[16:17]
	s_and_b32 vcc_lo, exec_lo, s21
	s_cbranch_vccnz .LBB34_39
.LBB34_13:                              ; =>This Loop Header: Depth=1
                                        ;     Child Loop BB34_15 Depth 2
                                        ;     Child Loop BB34_31 Depth 2
	;; [unrolled: 1-line block ×3, first 2 shown]
	v_mov_b32_e32 v6, 0
	s_and_saveexec_b32 s21, s0
	s_cbranch_execz .LBB34_17
; %bb.14:                               ;   in Loop: Header=BB34_13 Depth=1
	v_mov_b64_e32 v[4:5], v[16:17]
	v_dual_mov_b32 v6, 0 :: v_dual_mov_b32 v7, v32
	v_mov_b32_e32 v24, v0
	s_mov_b32 s22, 0
.LBB34_15:                              ;   Parent Loop BB34_13 Depth=1
                                        ; =>  This Inner Loop Header: Depth=2
	flat_load_b32 v25, v[4:5]
	ds_load_b32 v26, v7
	v_add_nc_u32_e32 v24, 0x400, v24
	s_wait_xcnt 0x0
	v_add_nc_u64_e32 v[4:5], 0x1000, v[4:5]
	v_add_nc_u32_e32 v7, 0x1000, v7
	s_delay_alu instid0(VALU_DEP_3)
	v_cmp_le_i32_e32 vcc_lo, s8, v24
	s_or_b32 s22, vcc_lo, s22
	s_wait_loadcnt_dscnt 0x0
	v_fmac_f32_e32 v6, v26, v25
	s_and_not1_b32 exec_lo, exec_lo, s22
	s_cbranch_execnz .LBB34_15
; %bb.16:                               ;   in Loop: Header=BB34_13 Depth=1
	s_or_b32 exec_lo, exec_lo, s22
.LBB34_17:                              ;   in Loop: Header=BB34_13 Depth=1
	s_delay_alu instid0(SALU_CYCLE_1) | instskip(NEXT) | instid1(SALU_CYCLE_1)
	s_or_b32 exec_lo, exec_lo, s21
	s_and_b32 vcc_lo, exec_lo, s24
	s_cbranch_vccz .LBB34_24
; %bb.18:                               ;   in Loop: Header=BB34_13 Depth=1
	v_cmp_ne_u32_e32 vcc_lo, 31, v31
	v_add_co_ci_u32_e64 v4, null, 0, v31, vcc_lo
	v_cmp_gt_u32_e32 vcc_lo, 30, v31
	s_delay_alu instid0(VALU_DEP_2)
	v_lshlrev_b32_e32 v4, 2, v4
	v_cndmask_b32_e64 v5, 0, 2, vcc_lo
	v_cmp_gt_u32_e32 vcc_lo, 28, v31
	ds_bpermute_b32 v4, v4, v6
	v_add_lshl_u32 v5, v5, v31, 2
	v_cndmask_b32_e64 v7, 0, 4, vcc_lo
	v_cmp_gt_u32_e32 vcc_lo, 24, v31
	s_delay_alu instid0(VALU_DEP_2)
	v_add_lshl_u32 v7, v7, v31, 2
	s_wait_dscnt 0x0
	v_add_f32_e32 v4, v6, v4
	ds_bpermute_b32 v5, v5, v4
	s_wait_dscnt 0x0
	v_add_f32_e32 v4, v4, v5
	ds_bpermute_b32 v5, v7, v4
	v_cndmask_b32_e64 v7, 0, 8, vcc_lo
	s_wait_dscnt 0x0
	v_add_f32_e32 v4, v4, v5
	s_delay_alu instid0(VALU_DEP_2)
	v_add_lshl_u32 v5, v7, v31, 2
	ds_bpermute_b32 v5, v5, v4
	s_wait_dscnt 0x0
	v_add_f32_e32 v4, v4, v5
	ds_bpermute_b32 v5, v33, v4
	s_wait_dscnt 0x0
	v_add_f32_e32 v4, v4, v5
	s_and_saveexec_b32 s21, s3
; %bb.19:                               ;   in Loop: Header=BB34_13 Depth=1
	ds_store_b32 v30, v4 offset:8192
; %bb.20:                               ;   in Loop: Header=BB34_13 Depth=1
	s_or_b32 exec_lo, exec_lo, s21
	s_mov_b32 s22, 0
	s_mov_b32 s21, 0
	s_wait_dscnt 0x0
	s_barrier_signal -1
	s_barrier_wait -1
                                        ; implicit-def: $vgpr5
	s_and_saveexec_b32 s23, s1
	s_delay_alu instid0(SALU_CYCLE_1)
	s_xor_b32 s23, exec_lo, s23
	s_cbranch_execz .LBB34_22
; %bb.21:                               ;   in Loop: Header=BB34_13 Depth=1
	ds_load_2addr_b32 v[24:25], v34 offset1:1
	ds_load_2addr_b32 v[26:27], v35 offset1:1
	;; [unrolled: 1-line block ×4, first 2 shown]
	s_mov_b32 s21, exec_lo
	s_wait_dscnt 0x3
	v_add_f32_e32 v4, v4, v24
	s_delay_alu instid0(VALU_DEP_1) | instskip(SKIP_3) | instid1(VALU_DEP_1)
	v_add_f32_e32 v4, v4, v25
	ds_load_2addr_b32 v[24:25], v39 offset1:1
	s_wait_dscnt 0x3
	v_add_f32_e32 v4, v4, v26
	v_add_f32_e32 v7, v4, v27
	ds_load_2addr_b32 v[4:5], v38 offset1:1
	s_wait_dscnt 0x3
	v_add_f32_e32 v7, v7, v28
	s_delay_alu instid0(VALU_DEP_1) | instskip(SKIP_4) | instid1(VALU_DEP_1)
	v_add_f32_e32 v7, v7, v29
	ds_load_2addr_b32 v[26:27], v40 offset1:1
	ds_load_2addr_b32 v[28:29], v41 offset1:1
	s_wait_dscnt 0x4
	v_add_f32_e32 v7, v7, v50
	v_add_f32_e32 v7, v7, v51
	s_wait_dscnt 0x2
	s_delay_alu instid0(VALU_DEP_1) | instskip(NEXT) | instid1(VALU_DEP_1)
	v_add_f32_e32 v4, v7, v4
	v_add_f32_e32 v4, v4, v5
	s_delay_alu instid0(VALU_DEP_1) | instskip(NEXT) | instid1(VALU_DEP_1)
	v_add_f32_e32 v4, v4, v24
	v_add_f32_e32 v7, v4, v25
	ds_load_2addr_b32 v[4:5], v42 offset1:1
	ds_load_2addr_b32 v[24:25], v43 offset1:1
	s_wait_dscnt 0x3
	v_add_f32_e32 v7, v7, v26
	s_delay_alu instid0(VALU_DEP_1) | instskip(SKIP_1) | instid1(VALU_DEP_1)
	v_add_f32_e32 v7, v7, v27
	s_wait_dscnt 0x2
	v_add_f32_e32 v7, v7, v28
	s_delay_alu instid0(VALU_DEP_1) | instskip(SKIP_4) | instid1(VALU_DEP_1)
	v_add_f32_e32 v7, v7, v29
	ds_load_2addr_b32 v[26:27], v44 offset1:1
	ds_load_2addr_b32 v[28:29], v45 offset1:1
	s_wait_dscnt 0x3
	v_add_f32_e32 v4, v7, v4
	v_add_f32_e32 v4, v4, v5
	s_wait_dscnt 0x2
	s_delay_alu instid0(VALU_DEP_1) | instskip(NEXT) | instid1(VALU_DEP_1)
	v_add_f32_e32 v4, v4, v24
	v_add_f32_e32 v4, v4, v25
	ds_load_2addr_b32 v[24:25], v47 offset1:1
	s_wait_dscnt 0x2
	v_add_f32_e32 v7, v4, v26
	ds_load_2addr_b32 v[4:5], v46 offset1:1
	v_add_f32_e32 v7, v7, v27
	s_wait_dscnt 0x2
	s_delay_alu instid0(VALU_DEP_1) | instskip(SKIP_4) | instid1(VALU_DEP_1)
	v_add_f32_e32 v7, v7, v28
	ds_load_2addr_b32 v[26:27], v48 offset1:1
	ds_load_b32 v28, v9 offset:8316
	v_add_f32_e32 v7, v7, v29
	s_wait_dscnt 0x2
	v_add_f32_e32 v4, v7, v4
	s_delay_alu instid0(VALU_DEP_1) | instskip(NEXT) | instid1(VALU_DEP_1)
	v_add_f32_e32 v4, v4, v5
	v_add_f32_e32 v4, v4, v24
	s_delay_alu instid0(VALU_DEP_1) | instskip(SKIP_1) | instid1(VALU_DEP_1)
	v_add_f32_e32 v4, v4, v25
	s_wait_dscnt 0x1
	v_add_f32_e32 v4, v4, v26
	s_delay_alu instid0(VALU_DEP_1) | instskip(SKIP_1) | instid1(VALU_DEP_1)
	v_add_f32_e32 v4, v4, v27
	s_wait_dscnt 0x0
	v_add_f32_e32 v5, v4, v28
.LBB34_22:                              ;   in Loop: Header=BB34_13 Depth=1
	s_or_b32 exec_lo, exec_lo, s23
	s_delay_alu instid0(SALU_CYCLE_1)
	s_and_b32 vcc_lo, exec_lo, s22
	s_cbranch_vccnz .LBB34_25
.LBB34_23:                              ;   in Loop: Header=BB34_13 Depth=1
	s_delay_alu instid0(VALU_DEP_1)
	v_mov_b32_e32 v6, v5
	s_and_saveexec_b32 s22, s21
	s_cbranch_execnz .LBB34_26
	s_branch .LBB34_27
.LBB34_24:                              ;   in Loop: Header=BB34_13 Depth=1
	s_mov_b32 s21, 0
                                        ; implicit-def: $vgpr5
	s_cbranch_execz .LBB34_23
.LBB34_25:                              ;   in Loop: Header=BB34_13 Depth=1
	s_and_not1_b32 s21, s21, exec_lo
	s_and_b32 s22, s1, exec_lo
	s_delay_alu instid0(SALU_CYCLE_1) | instskip(NEXT) | instid1(SALU_CYCLE_1)
	s_or_b32 s21, s21, s22
	s_and_saveexec_b32 s22, s21
.LBB34_26:                              ;   in Loop: Header=BB34_13 Depth=1
	ds_store_b32 v9, v6 offset:8192
.LBB34_27:                              ;   in Loop: Header=BB34_13 Depth=1
	s_or_b32 exec_lo, exec_lo, s22
	s_wait_dscnt 0x0
	s_barrier_signal -1
	s_barrier_wait -1
	s_and_saveexec_b32 s21, s2
	s_cbranch_execz .LBB34_12
; %bb.28:                               ;   in Loop: Header=BB34_13 Depth=1
	global_load_b32 v4, v9, s[12:13]
	ds_load_b32 v6, v9 offset:8192
	s_mov_b32 s23, s25
	s_wait_loadcnt 0x0
	v_xor_b32_e32 v7, 0x80000000, v4
	v_mov_b64_e32 v[4:5], v[0:1]
	s_wait_dscnt 0x0
	s_delay_alu instid0(VALU_DEP_2)
	v_mul_f32_e32 v24, v6, v7
	v_mov_b64_e32 v[6:7], v[8:9]
	s_wait_xcnt 0x0
	s_and_saveexec_b32 s22, s4
	s_cbranch_execz .LBB34_36
; %bb.29:                               ;   in Loop: Header=BB34_13 Depth=1
	v_mad_nc_u64_u32 v[4:5], s16, s18, v[18:19]
	s_mul_i32 s23, s17, s18
	s_mul_i32 s26, s16, s19
	s_delay_alu instid0(VALU_DEP_1) | instid1(SALU_CYCLE_1)
	v_add3_u32 v5, s26, s23, v5
	s_mov_b32 s26, -1
	s_delay_alu instid0(VALU_DEP_1) | instskip(NEXT) | instid1(VALU_DEP_1)
	v_add_nc_u64_e32 v[6:7], v[4:5], v[10:11]
	v_cmp_ge_u64_e32 vcc_lo, v[6:7], v[4:5]
	v_mov_b64_e32 v[4:5], v[0:1]
	v_mov_b64_e32 v[6:7], v[8:9]
	s_and_b32 s27, vcc_lo, s20
	s_delay_alu instid0(SALU_CYCLE_1)
	s_and_saveexec_b32 s23, s27
	s_cbranch_execz .LBB34_35
; %bb.30:                               ;   in Loop: Header=BB34_13 Depth=1
	v_mov_b64_e32 v[6:7], v[2:3]
	v_mov_b64_e32 v[26:27], v[12:13]
	;; [unrolled: 1-line block ×4, first 2 shown]
	v_mov_b32_e32 v25, v24
	s_mov_b32 s26, 0
.LBB34_31:                              ;   Parent Loop BB34_13 Depth=1
                                        ; =>  This Inner Loop Header: Depth=2
	s_clause 0x1
	flat_load_b32 v50, v[28:29] offset:-4096
	flat_load_b32 v51, v[28:29]
	v_dual_lshlrev_b32 v49, 2, v4 :: v_dual_lshlrev_b32 v53, 2, v6
	v_add_nc_u64_e32 v[26:27], -2, v[26:27]
	v_add_nc_u64_e32 v[6:7], 0x800, v[6:7]
	ds_load_b32 v52, v49
	ds_load_b32 v53, v53
	v_add_nc_u64_e32 v[4:5], 0x800, v[4:5]
	v_cmp_eq_u64_e32 vcc_lo, 0, v[26:27]
	s_or_b32 s26, vcc_lo, s26
	s_wait_loadcnt_dscnt 0x0
	v_pk_fma_f32 v[50:51], v[24:25], v[52:53], v[50:51]
	s_clause 0x1
	flat_store_b32 v[28:29], v50 offset:-4096
	flat_store_b32 v[28:29], v51
	s_wait_xcnt 0x0
	v_add_nc_u64_e32 v[28:29], 0x2000, v[28:29]
	s_and_not1_b32 exec_lo, exec_lo, s26
	s_cbranch_execnz .LBB34_31
; %bb.32:                               ;   in Loop: Header=BB34_13 Depth=1
	s_or_b32 exec_lo, exec_lo, s26
	s_mov_b32 s26, 0
	s_and_saveexec_b32 s27, s5
; %bb.33:                               ;   in Loop: Header=BB34_13 Depth=1
	s_mov_b32 s26, exec_lo
; %bb.34:                               ;   in Loop: Header=BB34_13 Depth=1
	s_or_b32 exec_lo, exec_lo, s27
	v_mov_b64_e32 v[4:5], v[14:15]
	v_mov_b64_e32 v[6:7], v[22:23]
	s_or_not1_b32 s26, s26, exec_lo
.LBB34_35:                              ;   in Loop: Header=BB34_13 Depth=1
	s_or_b32 exec_lo, exec_lo, s23
	s_delay_alu instid0(SALU_CYCLE_1) | instskip(SKIP_1) | instid1(SALU_CYCLE_1)
	s_and_not1_b32 s23, s25, exec_lo
	s_and_b32 s26, s26, exec_lo
	s_or_b32 s23, s23, s26
.LBB34_36:                              ;   in Loop: Header=BB34_13 Depth=1
	s_or_b32 exec_lo, exec_lo, s22
	s_delay_alu instid0(SALU_CYCLE_1)
	s_and_b32 exec_lo, exec_lo, s23
	s_cbranch_execz .LBB34_12
; %bb.37:                               ;   in Loop: Header=BB34_13 Depth=1
	v_add_nc_u64_e32 v[6:7], s[14:15], v[6:7]
	v_lshlrev_b32_e32 v25, 2, v4
	s_mov_b32 s22, 0
.LBB34_38:                              ;   Parent Loop BB34_13 Depth=1
                                        ; =>  This Inner Loop Header: Depth=2
	flat_load_b32 v26, v[6:7]
	ds_load_b32 v27, v25
	v_add_nc_u64_e32 v[4:5], 0x400, v[4:5]
	v_add_nc_u32_e32 v25, 0x1000, v25
	s_delay_alu instid0(VALU_DEP_2)
	v_cmp_le_i64_e32 vcc_lo, s[8:9], v[4:5]
	s_or_b32 s22, vcc_lo, s22
	s_wait_loadcnt_dscnt 0x0
	v_fmac_f32_e32 v26, v24, v27
	flat_store_b32 v[6:7], v26
	s_wait_xcnt 0x0
	v_add_nc_u64_e32 v[6:7], 0x1000, v[6:7]
	s_and_not1_b32 exec_lo, exec_lo, s22
	s_cbranch_execnz .LBB34_38
	s_branch .LBB34_12
.LBB34_39:
	s_endpgm
	.section	.rodata,"a",@progbits
	.p2align	6, 0x0
	.amdhsa_kernel _ZN9rocsolver6v33100L22larf_left_kernel_smallILi1024EflPKPfEEvT1_S5_T2_lS5_lPKT0_lS6_lS5_l
		.amdhsa_group_segment_fixed_size 12288
		.amdhsa_private_segment_fixed_size 0
		.amdhsa_kernarg_size 96
		.amdhsa_user_sgpr_count 2
		.amdhsa_user_sgpr_dispatch_ptr 0
		.amdhsa_user_sgpr_queue_ptr 0
		.amdhsa_user_sgpr_kernarg_segment_ptr 1
		.amdhsa_user_sgpr_dispatch_id 0
		.amdhsa_user_sgpr_kernarg_preload_length 0
		.amdhsa_user_sgpr_kernarg_preload_offset 0
		.amdhsa_user_sgpr_private_segment_size 0
		.amdhsa_wavefront_size32 1
		.amdhsa_uses_dynamic_stack 0
		.amdhsa_enable_private_segment 0
		.amdhsa_system_sgpr_workgroup_id_x 1
		.amdhsa_system_sgpr_workgroup_id_y 1
		.amdhsa_system_sgpr_workgroup_id_z 0
		.amdhsa_system_sgpr_workgroup_info 0
		.amdhsa_system_vgpr_workitem_id 0
		.amdhsa_next_free_vgpr 54
		.amdhsa_next_free_sgpr 34
		.amdhsa_named_barrier_count 0
		.amdhsa_reserve_vcc 1
		.amdhsa_float_round_mode_32 0
		.amdhsa_float_round_mode_16_64 0
		.amdhsa_float_denorm_mode_32 3
		.amdhsa_float_denorm_mode_16_64 3
		.amdhsa_fp16_overflow 0
		.amdhsa_memory_ordered 1
		.amdhsa_forward_progress 1
		.amdhsa_inst_pref_size 19
		.amdhsa_round_robin_scheduling 0
		.amdhsa_exception_fp_ieee_invalid_op 0
		.amdhsa_exception_fp_denorm_src 0
		.amdhsa_exception_fp_ieee_div_zero 0
		.amdhsa_exception_fp_ieee_overflow 0
		.amdhsa_exception_fp_ieee_underflow 0
		.amdhsa_exception_fp_ieee_inexact 0
		.amdhsa_exception_int_div_zero 0
	.end_amdhsa_kernel
	.section	.text._ZN9rocsolver6v33100L22larf_left_kernel_smallILi1024EflPKPfEEvT1_S5_T2_lS5_lPKT0_lS6_lS5_l,"axG",@progbits,_ZN9rocsolver6v33100L22larf_left_kernel_smallILi1024EflPKPfEEvT1_S5_T2_lS5_lPKT0_lS6_lS5_l,comdat
.Lfunc_end34:
	.size	_ZN9rocsolver6v33100L22larf_left_kernel_smallILi1024EflPKPfEEvT1_S5_T2_lS5_lPKT0_lS6_lS5_l, .Lfunc_end34-_ZN9rocsolver6v33100L22larf_left_kernel_smallILi1024EflPKPfEEvT1_S5_T2_lS5_lPKT0_lS6_lS5_l
                                        ; -- End function
	.set _ZN9rocsolver6v33100L22larf_left_kernel_smallILi1024EflPKPfEEvT1_S5_T2_lS5_lPKT0_lS6_lS5_l.num_vgpr, 54
	.set _ZN9rocsolver6v33100L22larf_left_kernel_smallILi1024EflPKPfEEvT1_S5_T2_lS5_lPKT0_lS6_lS5_l.num_agpr, 0
	.set _ZN9rocsolver6v33100L22larf_left_kernel_smallILi1024EflPKPfEEvT1_S5_T2_lS5_lPKT0_lS6_lS5_l.numbered_sgpr, 34
	.set _ZN9rocsolver6v33100L22larf_left_kernel_smallILi1024EflPKPfEEvT1_S5_T2_lS5_lPKT0_lS6_lS5_l.num_named_barrier, 0
	.set _ZN9rocsolver6v33100L22larf_left_kernel_smallILi1024EflPKPfEEvT1_S5_T2_lS5_lPKT0_lS6_lS5_l.private_seg_size, 0
	.set _ZN9rocsolver6v33100L22larf_left_kernel_smallILi1024EflPKPfEEvT1_S5_T2_lS5_lPKT0_lS6_lS5_l.uses_vcc, 1
	.set _ZN9rocsolver6v33100L22larf_left_kernel_smallILi1024EflPKPfEEvT1_S5_T2_lS5_lPKT0_lS6_lS5_l.uses_flat_scratch, 1
	.set _ZN9rocsolver6v33100L22larf_left_kernel_smallILi1024EflPKPfEEvT1_S5_T2_lS5_lPKT0_lS6_lS5_l.has_dyn_sized_stack, 0
	.set _ZN9rocsolver6v33100L22larf_left_kernel_smallILi1024EflPKPfEEvT1_S5_T2_lS5_lPKT0_lS6_lS5_l.has_recursion, 0
	.set _ZN9rocsolver6v33100L22larf_left_kernel_smallILi1024EflPKPfEEvT1_S5_T2_lS5_lPKT0_lS6_lS5_l.has_indirect_call, 0
	.section	.AMDGPU.csdata,"",@progbits
; Kernel info:
; codeLenInByte = 2368
; TotalNumSgprs: 36
; NumVgprs: 54
; ScratchSize: 0
; MemoryBound: 0
; FloatMode: 240
; IeeeMode: 1
; LDSByteSize: 12288 bytes/workgroup (compile time only)
; SGPRBlocks: 0
; VGPRBlocks: 3
; NumSGPRsForWavesPerEU: 36
; NumVGPRsForWavesPerEU: 54
; NamedBarCnt: 0
; Occupancy: 16
; WaveLimiterHint : 1
; COMPUTE_PGM_RSRC2:SCRATCH_EN: 0
; COMPUTE_PGM_RSRC2:USER_SGPR: 2
; COMPUTE_PGM_RSRC2:TRAP_HANDLER: 0
; COMPUTE_PGM_RSRC2:TGID_X_EN: 1
; COMPUTE_PGM_RSRC2:TGID_Y_EN: 1
; COMPUTE_PGM_RSRC2:TGID_Z_EN: 0
; COMPUTE_PGM_RSRC2:TIDIG_COMP_CNT: 0
	.section	.text._ZN9rocsolver6v33100L23larf_right_kernel_smallILi64EflPKPfEEvT1_S5_T2_lS5_lPKT0_lS6_lS5_l,"axG",@progbits,_ZN9rocsolver6v33100L23larf_right_kernel_smallILi64EflPKPfEEvT1_S5_T2_lS5_lPKT0_lS6_lS5_l,comdat
	.globl	_ZN9rocsolver6v33100L23larf_right_kernel_smallILi64EflPKPfEEvT1_S5_T2_lS5_lPKT0_lS6_lS5_l ; -- Begin function _ZN9rocsolver6v33100L23larf_right_kernel_smallILi64EflPKPfEEvT1_S5_T2_lS5_lPKT0_lS6_lS5_l
	.p2align	8
	.type	_ZN9rocsolver6v33100L23larf_right_kernel_smallILi64EflPKPfEEvT1_S5_T2_lS5_lPKT0_lS6_lS5_l,@function
_ZN9rocsolver6v33100L23larf_right_kernel_smallILi64EflPKPfEEvT1_S5_T2_lS5_lPKT0_lS6_lS5_l: ; @_ZN9rocsolver6v33100L23larf_right_kernel_smallILi64EflPKPfEEvT1_S5_T2_lS5_lPKT0_lS6_lS5_l
; %bb.0:
	s_clause 0x2
	s_load_b64 s[22:23], s[0:1], 0x20
	s_load_b256 s[4:11], s[0:1], 0x0
	s_load_b256 s[12:19], s[0:1], 0x30
	s_bfe_u32 s2, ttmp6, 0x4000c
	s_and_b32 s20, ttmp6, 15
	s_add_co_i32 s2, s2, 1
	s_getreg_b32 s3, hwreg(HW_REG_IB_STS2, 6, 4)
	s_mul_i32 s2, ttmp9, s2
	s_mov_b32 s21, 0
	s_add_co_i32 s20, s20, s2
	s_cmp_eq_u32 s3, 0
	s_cselect_b32 s20, ttmp9, s20
	s_wait_kmcnt 0x0
	v_cmp_gt_i64_e64 s24, s[22:23], 0
	s_and_b32 vcc_lo, exec_lo, s24
	s_mov_b64 s[24:25], 0
	s_cbranch_vccnz .LBB35_2
; %bb.1:
	s_sub_nc_u64 s[24:25], 1, s[6:7]
	s_delay_alu instid0(SALU_CYCLE_1)
	s_mul_u64 s[24:25], s[22:23], s[24:25]
.LBB35_2:
	s_load_b64 s[16:17], s[16:17], s20 offset:0x0 scale_offset
	v_mov_b32_e32 v1, 0
	s_delay_alu instid0(VALU_DEP_1)
	v_cmp_gt_i64_e64 s2, s[6:7], v[0:1]
	s_and_saveexec_b32 s30, s2
	s_cbranch_execz .LBB35_10
; %bb.3:
	s_load_b64 s[8:9], s[8:9], s20 offset:0x0 scale_offset
	v_mov_b32_e32 v3, -1
	v_not_b32_e32 v2, v0
	v_mov_b64_e32 v[6:7], v[0:1]
	s_mov_b32 s26, -1
	s_mov_b32 s31, exec_lo
	s_delay_alu instid0(VALU_DEP_2) | instskip(NEXT) | instid1(VALU_DEP_1)
	v_add_nc_u64_e32 v[2:3], s[6:7], v[2:3]
	v_cmpx_lt_u64_e32 63, v[2:3]
	s_cbranch_execz .LBB35_7
; %bb.4:
	v_lshrrev_b64 v[2:3], 6, v[2:3]
	s_lshl_b64 s[26:27], s[10:11], 2
	s_lshl_b64 s[28:29], s[24:25], 2
	s_wait_kmcnt 0x0
	s_add_nc_u64 s[26:27], s[8:9], s[26:27]
	s_mov_b32 s33, 0
	s_add_nc_u64 s[26:27], s[26:27], s[28:29]
	s_mov_b32 s28, s22
	v_add_nc_u64_e32 v[2:3], 1, v[2:3]
	v_mov_b32_e32 v7, 0
	s_mov_b32 s29, s23
	s_delay_alu instid0(VALU_DEP_2) | instskip(NEXT) | instid1(VALU_DEP_3)
	v_dual_mov_b32 v5, v3 :: v_dual_bitop2_b32 v8, 64, v0 bitop3:0x54
	v_dual_mov_b32 v6, v0 :: v_dual_bitop2_b32 v4, -2, v2 bitop3:0x40
	s_delay_alu instid0(VALU_DEP_3) | instskip(NEXT) | instid1(VALU_DEP_2)
	v_mov_b32_e32 v9, v7
	v_mov_b64_e32 v[10:11], v[4:5]
.LBB35_5:                               ; =>This Inner Loop Header: Depth=1
	s_delay_alu instid0(VALU_DEP_3) | instskip(NEXT) | instid1(VALU_DEP_3)
	v_mul_u64_e32 v[12:13], s[22:23], v[6:7]
	v_mul_u64_e32 v[14:15], s[28:29], v[8:9]
	s_delay_alu instid0(VALU_DEP_3) | instskip(NEXT) | instid1(VALU_DEP_1)
	v_add_nc_u64_e32 v[10:11], -2, v[10:11]
	v_cmp_eq_u64_e32 vcc_lo, 0, v[10:11]
	s_or_b32 s33, vcc_lo, s33
	s_delay_alu instid0(VALU_DEP_4) | instskip(NEXT) | instid1(VALU_DEP_4)
	v_lshl_add_u64 v[12:13], v[12:13], 2, s[26:27]
	v_lshl_add_u64 v[14:15], v[14:15], 2, s[26:27]
	s_clause 0x1
	flat_load_b32 v16, v[12:13]
	flat_load_b32 v17, v[14:15]
	s_wait_xcnt 0x1
	v_dual_lshlrev_b32 v12, 2, v6 :: v_dual_lshlrev_b32 v13, 2, v8
	v_add_nc_u64_e32 v[8:9], 0x80, v[8:9]
	v_add_nc_u64_e32 v[6:7], 0x80, v[6:7]
	s_wait_loadcnt_dscnt 0x101
	ds_store_b32 v12, v16
	s_wait_loadcnt_dscnt 0x1
	ds_store_b32 v13, v17
	s_wait_xcnt 0x0
	s_and_not1_b32 exec_lo, exec_lo, s33
	s_cbranch_execnz .LBB35_5
; %bb.6:
	s_or_b32 exec_lo, exec_lo, s33
	v_lshlrev_b64_e32 v[6:7], 6, v[4:5]
	v_cmp_ne_u64_e32 vcc_lo, v[2:3], v[4:5]
	s_delay_alu instid0(VALU_DEP_2)
	v_or_b32_e32 v6, v6, v0
	s_or_not1_b32 s26, vcc_lo, exec_lo
.LBB35_7:
	s_or_b32 exec_lo, exec_lo, s31
	s_delay_alu instid0(SALU_CYCLE_1)
	s_and_b32 exec_lo, exec_lo, s26
	s_cbranch_execz .LBB35_10
; %bb.8:
	v_mul_u64_e32 v[2:3], s[22:23], v[6:7]
	s_lshl_b64 s[10:11], s[10:11], 2
	s_lshl_b64 s[24:25], s[24:25], 2
	s_wait_kmcnt 0x0
	s_add_nc_u64 s[8:9], s[8:9], s[10:11]
	v_lshlrev_b32_e32 v4, 2, v6
	s_add_nc_u64 s[8:9], s[8:9], s[24:25]
	s_mov_b32 s10, 0
	s_delay_alu instid0(VALU_DEP_2)
	v_lshl_add_u64 v[2:3], v[2:3], 2, s[8:9]
	s_lshl_b64 s[8:9], s[22:23], 8
.LBB35_9:                               ; =>This Inner Loop Header: Depth=1
	flat_load_b32 v5, v[2:3]
	v_add_nc_u64_e32 v[6:7], 64, v[6:7]
	s_wait_xcnt 0x0
	v_add_nc_u64_e32 v[2:3], s[8:9], v[2:3]
	s_delay_alu instid0(VALU_DEP_2)
	v_cmp_le_i64_e32 vcc_lo, s[6:7], v[6:7]
	s_or_b32 s10, vcc_lo, s10
	s_wait_loadcnt_dscnt 0x0
	ds_store_b32 v4, v5
	v_add_nc_u32_e32 v4, 0x100, v4
	s_and_not1_b32 exec_lo, exec_lo, s10
	s_cbranch_execnz .LBB35_9
.LBB35_10:
	s_or_b32 exec_lo, exec_lo, s30
	s_wait_kmcnt 0x0
	s_bfe_u32 s8, ttmp6, 0x40010
	s_bfe_u32 s9, ttmp6, 0x40004
	s_add_co_i32 s8, s8, 1
	s_wait_dscnt 0x0
	s_mul_i32 s8, ttmp7, s8
	s_barrier_signal -1
	s_add_co_i32 s8, s9, s8
	s_cmp_eq_u32 s3, 0
	s_mov_b32 s9, 0
	s_cselect_b32 s8, ttmp7, s8
	s_barrier_wait -1
	v_cmp_le_i64_e64 s3, s[4:5], s[8:9]
	s_and_b32 vcc_lo, exec_lo, s3
	s_cbranch_vccnz .LBB35_30
; %bb.11:
	s_load_b64 s[22:23], s[0:1], 0x50
	s_mul_u64 s[10:11], s[14:15], s[20:21]
	s_lshl_b64 s[24:25], s[18:19], 2
	s_lshl_b64 s[14:15], s[10:11], 2
	s_cmp_gt_i32 s6, 1
	v_dual_lshrrev_b32 v8, 3, v0 :: v_dual_bitop2_b32 v4, 31, v0 bitop3:0x40
	s_cselect_b32 s18, -1, 0
	s_lshl_b64 s[20:21], s[8:9], 2
	v_mbcnt_lo_u32_b32 v10, -1, 0
	s_add_nc_u64 s[10:11], s[16:17], s[24:25]
	s_add_nc_u64 s[16:17], s[16:17], s[20:21]
	s_wait_xcnt 0x0
	v_cmp_gt_i32_e64 s0, s6, v0
	s_add_nc_u64 s[16:17], s[16:17], s[24:25]
	v_cmp_eq_u32_e64 s1, 0, v0
	v_dual_lshlrev_b32 v9, 2, v0 :: v_dual_mov_b32 v13, 0
	v_cmp_eq_u32_e64 s3, 0, v4
	v_lshl_or_b32 v12, v10, 2, 64
	s_add_nc_u64 s[12:13], s[12:13], s[14:15]
	s_wait_kmcnt 0x0
	v_mul_u64_e32 v[2:3], s[22:23], v[0:1]
	v_mul_lo_u32 v11, v0, s22
	s_lshl_b32 s19, s22, 6
	s_lshl_b64 s[14:15], s[22:23], 8
	s_delay_alu instid0(VALU_DEP_2)
	v_lshl_add_u64 v[2:3], v[2:3], 2, s[16:17]
	s_branch .LBB35_13
.LBB35_12:                              ;   in Loop: Header=BB35_13 Depth=1
	s_or_b32 exec_lo, exec_lo, s16
	s_add_nc_u64 s[8:9], s[8:9], 64
	v_add_nc_u64_e32 v[2:3], 0x100, v[2:3]
	v_cmp_ge_i64_e64 s16, s[8:9], s[4:5]
	s_and_b32 vcc_lo, exec_lo, s16
	s_cbranch_vccnz .LBB35_30
.LBB35_13:                              ; =>This Loop Header: Depth=1
                                        ;     Child Loop BB35_15 Depth 2
                                        ;     Child Loop BB35_29 Depth 2
	v_mov_b32_e32 v4, 0
	s_and_saveexec_b32 s20, s0
	s_cbranch_execz .LBB35_17
; %bb.14:                               ;   in Loop: Header=BB35_13 Depth=1
	s_delay_alu instid0(VALU_DEP_3)
	v_dual_mov_b32 v4, 0 :: v_dual_mov_b32 v5, v11
	v_dual_mov_b32 v6, v9 :: v_dual_mov_b32 v7, v0
	s_lshl_b64 s[16:17], s[8:9], 2
	s_mov_b32 s21, 0
	s_add_nc_u64 s[16:17], s[10:11], s[16:17]
.LBB35_15:                              ;   Parent Loop BB35_13 Depth=1
                                        ; =>  This Inner Loop Header: Depth=2
	flat_load_b32 v14, v5, s[16:17] scale_offset
	ds_load_b32 v15, v6
	s_wait_xcnt 0x0
	v_dual_add_nc_u32 v7, 64, v7 :: v_dual_add_nc_u32 v5, s19, v5
	v_add_nc_u32_e32 v6, 0x100, v6
	s_delay_alu instid0(VALU_DEP_2)
	v_cmp_le_i32_e32 vcc_lo, s6, v7
	s_or_b32 s21, vcc_lo, s21
	s_wait_loadcnt_dscnt 0x0
	v_fmac_f32_e32 v4, v15, v14
	s_and_not1_b32 exec_lo, exec_lo, s21
	s_cbranch_execnz .LBB35_15
; %bb.16:                               ;   in Loop: Header=BB35_13 Depth=1
	s_or_b32 exec_lo, exec_lo, s21
.LBB35_17:                              ;   in Loop: Header=BB35_13 Depth=1
	s_delay_alu instid0(SALU_CYCLE_1) | instskip(NEXT) | instid1(SALU_CYCLE_1)
	s_or_b32 exec_lo, exec_lo, s20
	s_and_b32 vcc_lo, exec_lo, s18
	s_cbranch_vccz .LBB35_24
; %bb.18:                               ;   in Loop: Header=BB35_13 Depth=1
	v_cmp_ne_u32_e32 vcc_lo, 31, v10
	v_add_co_ci_u32_e64 v5, null, 0, v10, vcc_lo
	v_cmp_gt_u32_e32 vcc_lo, 30, v10
	s_delay_alu instid0(VALU_DEP_2)
	v_lshlrev_b32_e32 v5, 2, v5
	v_cndmask_b32_e64 v6, 0, 2, vcc_lo
	v_cmp_gt_u32_e32 vcc_lo, 28, v10
	ds_bpermute_b32 v5, v5, v4
	v_add_lshl_u32 v6, v6, v10, 2
	v_cndmask_b32_e64 v7, 0, 4, vcc_lo
	v_cmp_gt_u32_e32 vcc_lo, 24, v10
	s_delay_alu instid0(VALU_DEP_2)
	v_add_lshl_u32 v7, v7, v10, 2
	s_wait_dscnt 0x0
	v_add_f32_e32 v5, v4, v5
	ds_bpermute_b32 v6, v6, v5
	s_wait_dscnt 0x0
	v_add_f32_e32 v5, v5, v6
	ds_bpermute_b32 v6, v7, v5
	v_cndmask_b32_e64 v7, 0, 8, vcc_lo
	s_wait_dscnt 0x0
	v_add_f32_e32 v5, v5, v6
	s_delay_alu instid0(VALU_DEP_2)
	v_add_lshl_u32 v6, v7, v10, 2
	ds_bpermute_b32 v6, v6, v5
	s_wait_dscnt 0x0
	v_add_f32_e32 v5, v5, v6
	ds_bpermute_b32 v6, v12, v5
	s_wait_dscnt 0x0
	v_add_f32_e32 v6, v5, v6
	s_and_saveexec_b32 s16, s3
; %bb.19:                               ;   in Loop: Header=BB35_13 Depth=1
	ds_store_b32 v8, v6 offset:8192
; %bb.20:                               ;   in Loop: Header=BB35_13 Depth=1
	s_or_b32 exec_lo, exec_lo, s16
	s_mov_b32 s17, 0
	s_mov_b32 s16, 0
	s_wait_dscnt 0x0
	s_barrier_signal -1
	s_barrier_wait -1
                                        ; implicit-def: $vgpr5
	s_and_saveexec_b32 s20, s1
	s_delay_alu instid0(SALU_CYCLE_1)
	s_xor_b32 s20, exec_lo, s20
	s_cbranch_execz .LBB35_22
; %bb.21:                               ;   in Loop: Header=BB35_13 Depth=1
	ds_load_b32 v5, v13 offset:8196
	s_mov_b32 s16, exec_lo
	s_wait_dscnt 0x0
	v_add_f32_e32 v5, v6, v5
.LBB35_22:                              ;   in Loop: Header=BB35_13 Depth=1
	s_or_b32 exec_lo, exec_lo, s20
	s_delay_alu instid0(SALU_CYCLE_1)
	s_and_b32 vcc_lo, exec_lo, s17
	s_cbranch_vccnz .LBB35_25
.LBB35_23:                              ;   in Loop: Header=BB35_13 Depth=1
	s_delay_alu instid0(VALU_DEP_1)
	v_mov_b32_e32 v4, v5
	s_and_saveexec_b32 s17, s16
	s_cbranch_execnz .LBB35_26
	s_branch .LBB35_27
.LBB35_24:                              ;   in Loop: Header=BB35_13 Depth=1
	s_mov_b32 s16, 0
                                        ; implicit-def: $vgpr5
	s_cbranch_execz .LBB35_23
.LBB35_25:                              ;   in Loop: Header=BB35_13 Depth=1
	s_and_not1_b32 s16, s16, exec_lo
	s_and_b32 s17, s1, exec_lo
	s_delay_alu instid0(SALU_CYCLE_1) | instskip(NEXT) | instid1(SALU_CYCLE_1)
	s_or_b32 s16, s16, s17
	s_and_saveexec_b32 s17, s16
.LBB35_26:                              ;   in Loop: Header=BB35_13 Depth=1
	ds_store_b32 v13, v4 offset:8192
.LBB35_27:                              ;   in Loop: Header=BB35_13 Depth=1
	s_or_b32 exec_lo, exec_lo, s17
	s_wait_dscnt 0x0
	s_barrier_signal -1
	s_barrier_wait -1
	s_and_saveexec_b32 s16, s2
	s_cbranch_execz .LBB35_12
; %bb.28:                               ;   in Loop: Header=BB35_13 Depth=1
	global_load_b32 v4, v13, s[12:13]
	ds_load_b32 v6, v13 offset:8192
	s_mov_b32 s17, 0
	s_wait_loadcnt 0x0
	v_xor_b32_e32 v7, 0x80000000, v4
	v_mov_b32_e32 v14, v9
	v_mov_b64_e32 v[4:5], v[2:3]
	s_wait_dscnt 0x0
	s_delay_alu instid0(VALU_DEP_3)
	v_mul_f32_e32 v15, v6, v7
	v_mov_b64_e32 v[6:7], v[0:1]
.LBB35_29:                              ;   Parent Loop BB35_13 Depth=1
                                        ; =>  This Inner Loop Header: Depth=2
	flat_load_b32 v16, v[4:5]
	ds_load_b32 v17, v14
	v_add_nc_u64_e32 v[6:7], 64, v[6:7]
	v_add_nc_u32_e32 v14, 0x100, v14
	s_delay_alu instid0(VALU_DEP_2)
	v_cmp_le_i64_e32 vcc_lo, s[6:7], v[6:7]
	s_or_b32 s17, vcc_lo, s17
	s_wait_loadcnt_dscnt 0x0
	v_fmac_f32_e32 v16, v15, v17
	flat_store_b32 v[4:5], v16
	s_wait_xcnt 0x0
	v_add_nc_u64_e32 v[4:5], s[14:15], v[4:5]
	s_and_not1_b32 exec_lo, exec_lo, s17
	s_cbranch_execnz .LBB35_29
	s_branch .LBB35_12
.LBB35_30:
	s_endpgm
	.section	.rodata,"a",@progbits
	.p2align	6, 0x0
	.amdhsa_kernel _ZN9rocsolver6v33100L23larf_right_kernel_smallILi64EflPKPfEEvT1_S5_T2_lS5_lPKT0_lS6_lS5_l
		.amdhsa_group_segment_fixed_size 8200
		.amdhsa_private_segment_fixed_size 0
		.amdhsa_kernarg_size 96
		.amdhsa_user_sgpr_count 2
		.amdhsa_user_sgpr_dispatch_ptr 0
		.amdhsa_user_sgpr_queue_ptr 0
		.amdhsa_user_sgpr_kernarg_segment_ptr 1
		.amdhsa_user_sgpr_dispatch_id 0
		.amdhsa_user_sgpr_kernarg_preload_length 0
		.amdhsa_user_sgpr_kernarg_preload_offset 0
		.amdhsa_user_sgpr_private_segment_size 0
		.amdhsa_wavefront_size32 1
		.amdhsa_uses_dynamic_stack 0
		.amdhsa_enable_private_segment 0
		.amdhsa_system_sgpr_workgroup_id_x 1
		.amdhsa_system_sgpr_workgroup_id_y 1
		.amdhsa_system_sgpr_workgroup_id_z 0
		.amdhsa_system_sgpr_workgroup_info 0
		.amdhsa_system_vgpr_workitem_id 0
		.amdhsa_next_free_vgpr 81
		.amdhsa_next_free_sgpr 34
		.amdhsa_named_barrier_count 0
		.amdhsa_reserve_vcc 1
		.amdhsa_float_round_mode_32 0
		.amdhsa_float_round_mode_16_64 0
		.amdhsa_float_denorm_mode_32 3
		.amdhsa_float_denorm_mode_16_64 3
		.amdhsa_fp16_overflow 0
		.amdhsa_memory_ordered 1
		.amdhsa_forward_progress 1
		.amdhsa_inst_pref_size 12
		.amdhsa_round_robin_scheduling 0
		.amdhsa_exception_fp_ieee_invalid_op 0
		.amdhsa_exception_fp_denorm_src 0
		.amdhsa_exception_fp_ieee_div_zero 0
		.amdhsa_exception_fp_ieee_overflow 0
		.amdhsa_exception_fp_ieee_underflow 0
		.amdhsa_exception_fp_ieee_inexact 0
		.amdhsa_exception_int_div_zero 0
	.end_amdhsa_kernel
	.section	.text._ZN9rocsolver6v33100L23larf_right_kernel_smallILi64EflPKPfEEvT1_S5_T2_lS5_lPKT0_lS6_lS5_l,"axG",@progbits,_ZN9rocsolver6v33100L23larf_right_kernel_smallILi64EflPKPfEEvT1_S5_T2_lS5_lPKT0_lS6_lS5_l,comdat
.Lfunc_end35:
	.size	_ZN9rocsolver6v33100L23larf_right_kernel_smallILi64EflPKPfEEvT1_S5_T2_lS5_lPKT0_lS6_lS5_l, .Lfunc_end35-_ZN9rocsolver6v33100L23larf_right_kernel_smallILi64EflPKPfEEvT1_S5_T2_lS5_lPKT0_lS6_lS5_l
                                        ; -- End function
	.set _ZN9rocsolver6v33100L23larf_right_kernel_smallILi64EflPKPfEEvT1_S5_T2_lS5_lPKT0_lS6_lS5_l.num_vgpr, 18
	.set _ZN9rocsolver6v33100L23larf_right_kernel_smallILi64EflPKPfEEvT1_S5_T2_lS5_lPKT0_lS6_lS5_l.num_agpr, 0
	.set _ZN9rocsolver6v33100L23larf_right_kernel_smallILi64EflPKPfEEvT1_S5_T2_lS5_lPKT0_lS6_lS5_l.numbered_sgpr, 34
	.set _ZN9rocsolver6v33100L23larf_right_kernel_smallILi64EflPKPfEEvT1_S5_T2_lS5_lPKT0_lS6_lS5_l.num_named_barrier, 0
	.set _ZN9rocsolver6v33100L23larf_right_kernel_smallILi64EflPKPfEEvT1_S5_T2_lS5_lPKT0_lS6_lS5_l.private_seg_size, 0
	.set _ZN9rocsolver6v33100L23larf_right_kernel_smallILi64EflPKPfEEvT1_S5_T2_lS5_lPKT0_lS6_lS5_l.uses_vcc, 1
	.set _ZN9rocsolver6v33100L23larf_right_kernel_smallILi64EflPKPfEEvT1_S5_T2_lS5_lPKT0_lS6_lS5_l.uses_flat_scratch, 1
	.set _ZN9rocsolver6v33100L23larf_right_kernel_smallILi64EflPKPfEEvT1_S5_T2_lS5_lPKT0_lS6_lS5_l.has_dyn_sized_stack, 0
	.set _ZN9rocsolver6v33100L23larf_right_kernel_smallILi64EflPKPfEEvT1_S5_T2_lS5_lPKT0_lS6_lS5_l.has_recursion, 0
	.set _ZN9rocsolver6v33100L23larf_right_kernel_smallILi64EflPKPfEEvT1_S5_T2_lS5_lPKT0_lS6_lS5_l.has_indirect_call, 0
	.section	.AMDGPU.csdata,"",@progbits
; Kernel info:
; codeLenInByte = 1448
; TotalNumSgprs: 36
; NumVgprs: 18
; ScratchSize: 0
; MemoryBound: 0
; FloatMode: 240
; IeeeMode: 1
; LDSByteSize: 8200 bytes/workgroup (compile time only)
; SGPRBlocks: 0
; VGPRBlocks: 5
; NumSGPRsForWavesPerEU: 36
; NumVGPRsForWavesPerEU: 81
; NamedBarCnt: 0
; Occupancy: 10
; WaveLimiterHint : 1
; COMPUTE_PGM_RSRC2:SCRATCH_EN: 0
; COMPUTE_PGM_RSRC2:USER_SGPR: 2
; COMPUTE_PGM_RSRC2:TRAP_HANDLER: 0
; COMPUTE_PGM_RSRC2:TGID_X_EN: 1
; COMPUTE_PGM_RSRC2:TGID_Y_EN: 1
; COMPUTE_PGM_RSRC2:TGID_Z_EN: 0
; COMPUTE_PGM_RSRC2:TIDIG_COMP_CNT: 0
	.section	.text._ZN9rocsolver6v33100L23larf_right_kernel_smallILi128EflPKPfEEvT1_S5_T2_lS5_lPKT0_lS6_lS5_l,"axG",@progbits,_ZN9rocsolver6v33100L23larf_right_kernel_smallILi128EflPKPfEEvT1_S5_T2_lS5_lPKT0_lS6_lS5_l,comdat
	.globl	_ZN9rocsolver6v33100L23larf_right_kernel_smallILi128EflPKPfEEvT1_S5_T2_lS5_lPKT0_lS6_lS5_l ; -- Begin function _ZN9rocsolver6v33100L23larf_right_kernel_smallILi128EflPKPfEEvT1_S5_T2_lS5_lPKT0_lS6_lS5_l
	.p2align	8
	.type	_ZN9rocsolver6v33100L23larf_right_kernel_smallILi128EflPKPfEEvT1_S5_T2_lS5_lPKT0_lS6_lS5_l,@function
_ZN9rocsolver6v33100L23larf_right_kernel_smallILi128EflPKPfEEvT1_S5_T2_lS5_lPKT0_lS6_lS5_l: ; @_ZN9rocsolver6v33100L23larf_right_kernel_smallILi128EflPKPfEEvT1_S5_T2_lS5_lPKT0_lS6_lS5_l
; %bb.0:
	s_clause 0x2
	s_load_b64 s[22:23], s[0:1], 0x20
	s_load_b256 s[4:11], s[0:1], 0x0
	s_load_b256 s[12:19], s[0:1], 0x30
	s_bfe_u32 s2, ttmp6, 0x4000c
	s_and_b32 s20, ttmp6, 15
	s_add_co_i32 s2, s2, 1
	s_getreg_b32 s3, hwreg(HW_REG_IB_STS2, 6, 4)
	s_mul_i32 s2, ttmp9, s2
	s_mov_b32 s21, 0
	s_add_co_i32 s20, s20, s2
	s_cmp_eq_u32 s3, 0
	s_cselect_b32 s20, ttmp9, s20
	s_wait_kmcnt 0x0
	v_cmp_gt_i64_e64 s24, s[22:23], 0
	s_and_b32 vcc_lo, exec_lo, s24
	s_mov_b64 s[24:25], 0
	s_cbranch_vccnz .LBB36_2
; %bb.1:
	s_sub_nc_u64 s[24:25], 1, s[6:7]
	s_delay_alu instid0(SALU_CYCLE_1)
	s_mul_u64 s[24:25], s[22:23], s[24:25]
.LBB36_2:
	s_load_b64 s[16:17], s[16:17], s20 offset:0x0 scale_offset
	v_mov_b32_e32 v1, 0
	s_delay_alu instid0(VALU_DEP_1)
	v_cmp_gt_i64_e64 s2, s[6:7], v[0:1]
	s_and_saveexec_b32 s30, s2
	s_cbranch_execz .LBB36_10
; %bb.3:
	s_load_b64 s[8:9], s[8:9], s20 offset:0x0 scale_offset
	v_mov_b32_e32 v3, -1
	v_not_b32_e32 v2, v0
	v_mov_b64_e32 v[6:7], v[0:1]
	s_mov_b32 s26, -1
	s_mov_b32 s31, exec_lo
	s_delay_alu instid0(VALU_DEP_2) | instskip(NEXT) | instid1(VALU_DEP_1)
	v_add_nc_u64_e32 v[2:3], s[6:7], v[2:3]
	v_cmpx_lt_u64_e32 0x7f, v[2:3]
	s_cbranch_execz .LBB36_7
; %bb.4:
	v_lshrrev_b64 v[2:3], 7, v[2:3]
	s_lshl_b64 s[26:27], s[10:11], 2
	v_or_b32_e32 v8, 0x80, v0
	s_lshl_b64 s[28:29], s[24:25], 2
	s_wait_kmcnt 0x0
	s_add_nc_u64 s[26:27], s[8:9], s[26:27]
	s_mov_b32 s33, 0
	s_add_nc_u64 s[26:27], s[26:27], s[28:29]
	v_add_nc_u64_e32 v[2:3], 1, v[2:3]
	v_mov_b32_e32 v7, 0
	s_mov_b32 s28, s22
	s_mov_b32 s29, s23
	s_delay_alu instid0(VALU_DEP_2) | instskip(NEXT) | instid1(VALU_DEP_2)
	v_dual_mov_b32 v6, v0 :: v_dual_mov_b32 v5, v3
	v_dual_mov_b32 v9, v7 :: v_dual_bitop2_b32 v4, -2, v2 bitop3:0x40
	s_delay_alu instid0(VALU_DEP_1)
	v_mov_b64_e32 v[10:11], v[4:5]
.LBB36_5:                               ; =>This Inner Loop Header: Depth=1
	s_delay_alu instid0(VALU_DEP_3) | instskip(NEXT) | instid1(VALU_DEP_3)
	v_mul_u64_e32 v[12:13], s[22:23], v[6:7]
	v_mul_u64_e32 v[14:15], s[28:29], v[8:9]
	s_delay_alu instid0(VALU_DEP_3) | instskip(NEXT) | instid1(VALU_DEP_1)
	v_add_nc_u64_e32 v[10:11], -2, v[10:11]
	v_cmp_eq_u64_e32 vcc_lo, 0, v[10:11]
	s_or_b32 s33, vcc_lo, s33
	s_delay_alu instid0(VALU_DEP_4) | instskip(NEXT) | instid1(VALU_DEP_4)
	v_lshl_add_u64 v[12:13], v[12:13], 2, s[26:27]
	v_lshl_add_u64 v[14:15], v[14:15], 2, s[26:27]
	s_clause 0x1
	flat_load_b32 v16, v[12:13]
	flat_load_b32 v17, v[14:15]
	s_wait_xcnt 0x1
	v_dual_lshlrev_b32 v12, 2, v6 :: v_dual_lshlrev_b32 v13, 2, v8
	v_add_nc_u64_e32 v[8:9], 0x100, v[8:9]
	v_add_nc_u64_e32 v[6:7], 0x100, v[6:7]
	s_wait_loadcnt_dscnt 0x101
	ds_store_b32 v12, v16
	s_wait_loadcnt_dscnt 0x1
	ds_store_b32 v13, v17
	s_wait_xcnt 0x0
	s_and_not1_b32 exec_lo, exec_lo, s33
	s_cbranch_execnz .LBB36_5
; %bb.6:
	s_or_b32 exec_lo, exec_lo, s33
	v_lshlrev_b64_e32 v[6:7], 7, v[4:5]
	v_cmp_ne_u64_e32 vcc_lo, v[2:3], v[4:5]
	s_delay_alu instid0(VALU_DEP_2)
	v_or_b32_e32 v6, v6, v0
	s_or_not1_b32 s26, vcc_lo, exec_lo
.LBB36_7:
	s_or_b32 exec_lo, exec_lo, s31
	s_delay_alu instid0(SALU_CYCLE_1)
	s_and_b32 exec_lo, exec_lo, s26
	s_cbranch_execz .LBB36_10
; %bb.8:
	v_mul_u64_e32 v[2:3], s[22:23], v[6:7]
	s_lshl_b64 s[10:11], s[10:11], 2
	s_lshl_b64 s[24:25], s[24:25], 2
	s_wait_kmcnt 0x0
	s_add_nc_u64 s[8:9], s[8:9], s[10:11]
	v_lshlrev_b32_e32 v4, 2, v6
	s_add_nc_u64 s[8:9], s[8:9], s[24:25]
	s_mov_b32 s10, 0
	s_delay_alu instid0(VALU_DEP_2)
	v_lshl_add_u64 v[2:3], v[2:3], 2, s[8:9]
	s_lshl_b64 s[8:9], s[22:23], 9
.LBB36_9:                               ; =>This Inner Loop Header: Depth=1
	flat_load_b32 v5, v[2:3]
	v_add_nc_u64_e32 v[6:7], 0x80, v[6:7]
	s_wait_xcnt 0x0
	v_add_nc_u64_e32 v[2:3], s[8:9], v[2:3]
	s_delay_alu instid0(VALU_DEP_2)
	v_cmp_le_i64_e32 vcc_lo, s[6:7], v[6:7]
	s_or_b32 s10, vcc_lo, s10
	s_wait_loadcnt_dscnt 0x0
	ds_store_b32 v4, v5
	v_add_nc_u32_e32 v4, 0x200, v4
	s_and_not1_b32 exec_lo, exec_lo, s10
	s_cbranch_execnz .LBB36_9
.LBB36_10:
	s_or_b32 exec_lo, exec_lo, s30
	s_wait_kmcnt 0x0
	s_bfe_u32 s8, ttmp6, 0x40010
	s_bfe_u32 s9, ttmp6, 0x40004
	s_add_co_i32 s8, s8, 1
	s_wait_dscnt 0x0
	s_mul_i32 s8, ttmp7, s8
	s_barrier_signal -1
	s_add_co_i32 s8, s9, s8
	s_cmp_eq_u32 s3, 0
	s_mov_b32 s9, 0
	s_cselect_b32 s8, ttmp7, s8
	s_barrier_wait -1
	v_cmp_le_i64_e64 s3, s[4:5], s[8:9]
	s_and_b32 vcc_lo, exec_lo, s3
	s_cbranch_vccnz .LBB36_30
; %bb.11:
	s_load_b64 s[22:23], s[0:1], 0x50
	s_mul_u64 s[10:11], s[14:15], s[20:21]
	s_lshl_b64 s[24:25], s[18:19], 2
	s_lshl_b64 s[14:15], s[10:11], 2
	s_cmp_gt_i32 s6, 1
	v_dual_lshrrev_b32 v8, 3, v0 :: v_dual_bitop2_b32 v4, 31, v0 bitop3:0x40
	s_cselect_b32 s18, -1, 0
	s_lshl_b64 s[20:21], s[8:9], 2
	v_mbcnt_lo_u32_b32 v10, -1, 0
	s_add_nc_u64 s[10:11], s[16:17], s[24:25]
	s_add_nc_u64 s[16:17], s[16:17], s[20:21]
	s_wait_xcnt 0x0
	v_cmp_gt_i32_e64 s0, s6, v0
	s_add_nc_u64 s[16:17], s[16:17], s[24:25]
	v_cmp_eq_u32_e64 s1, 0, v0
	v_dual_mov_b32 v14, 0 :: v_dual_lshlrev_b32 v9, 2, v0
	v_mov_b32_e32 v11, 0x2004
	v_cmp_eq_u32_e64 s3, 0, v4
	v_lshl_or_b32 v13, v10, 2, 64
	s_wait_kmcnt 0x0
	v_mul_u64_e32 v[2:3], s[22:23], v[0:1]
	v_mul_lo_u32 v12, v0, s22
	s_add_nc_u64 s[12:13], s[12:13], s[14:15]
	s_lshl_b32 s19, s22, 7
	s_lshl_b64 s[14:15], s[22:23], 9
	s_delay_alu instid0(VALU_DEP_2)
	v_lshl_add_u64 v[2:3], v[2:3], 2, s[16:17]
	s_branch .LBB36_13
.LBB36_12:                              ;   in Loop: Header=BB36_13 Depth=1
	s_or_b32 exec_lo, exec_lo, s16
	s_add_nc_u64 s[8:9], s[8:9], 64
	v_add_nc_u64_e32 v[2:3], 0x100, v[2:3]
	v_cmp_ge_i64_e64 s16, s[8:9], s[4:5]
	s_and_b32 vcc_lo, exec_lo, s16
	s_cbranch_vccnz .LBB36_30
.LBB36_13:                              ; =>This Loop Header: Depth=1
                                        ;     Child Loop BB36_15 Depth 2
                                        ;     Child Loop BB36_29 Depth 2
	v_mov_b32_e32 v4, 0
	s_and_saveexec_b32 s20, s0
	s_cbranch_execz .LBB36_17
; %bb.14:                               ;   in Loop: Header=BB36_13 Depth=1
	s_delay_alu instid0(VALU_DEP_3)
	v_dual_mov_b32 v4, 0 :: v_dual_mov_b32 v5, v12
	v_dual_mov_b32 v6, v9 :: v_dual_mov_b32 v7, v0
	s_lshl_b64 s[16:17], s[8:9], 2
	s_mov_b32 s21, 0
	s_add_nc_u64 s[16:17], s[10:11], s[16:17]
.LBB36_15:                              ;   Parent Loop BB36_13 Depth=1
                                        ; =>  This Inner Loop Header: Depth=2
	flat_load_b32 v15, v5, s[16:17] scale_offset
	ds_load_b32 v16, v6
	v_add_nc_u32_e32 v7, 0x80, v7
	v_add_nc_u32_e32 v6, 0x200, v6
	s_wait_xcnt 0x0
	v_add_nc_u32_e32 v5, s19, v5
	s_delay_alu instid0(VALU_DEP_3)
	v_cmp_le_i32_e32 vcc_lo, s6, v7
	s_or_b32 s21, vcc_lo, s21
	s_wait_loadcnt_dscnt 0x0
	v_fmac_f32_e32 v4, v16, v15
	s_and_not1_b32 exec_lo, exec_lo, s21
	s_cbranch_execnz .LBB36_15
; %bb.16:                               ;   in Loop: Header=BB36_13 Depth=1
	s_or_b32 exec_lo, exec_lo, s21
.LBB36_17:                              ;   in Loop: Header=BB36_13 Depth=1
	s_delay_alu instid0(SALU_CYCLE_1) | instskip(NEXT) | instid1(SALU_CYCLE_1)
	s_or_b32 exec_lo, exec_lo, s20
	s_and_b32 vcc_lo, exec_lo, s18
	s_cbranch_vccz .LBB36_24
; %bb.18:                               ;   in Loop: Header=BB36_13 Depth=1
	v_cmp_ne_u32_e32 vcc_lo, 31, v10
	v_add_co_ci_u32_e64 v5, null, 0, v10, vcc_lo
	v_cmp_gt_u32_e32 vcc_lo, 30, v10
	s_delay_alu instid0(VALU_DEP_2)
	v_lshlrev_b32_e32 v5, 2, v5
	v_cndmask_b32_e64 v6, 0, 2, vcc_lo
	v_cmp_gt_u32_e32 vcc_lo, 28, v10
	ds_bpermute_b32 v5, v5, v4
	v_add_lshl_u32 v6, v6, v10, 2
	v_cndmask_b32_e64 v7, 0, 4, vcc_lo
	v_cmp_gt_u32_e32 vcc_lo, 24, v10
	s_delay_alu instid0(VALU_DEP_2)
	v_add_lshl_u32 v7, v7, v10, 2
	s_wait_dscnt 0x0
	v_add_f32_e32 v5, v4, v5
	ds_bpermute_b32 v6, v6, v5
	s_wait_dscnt 0x0
	v_add_f32_e32 v5, v5, v6
	ds_bpermute_b32 v6, v7, v5
	v_cndmask_b32_e64 v7, 0, 8, vcc_lo
	s_wait_dscnt 0x0
	v_add_f32_e32 v5, v5, v6
	s_delay_alu instid0(VALU_DEP_2)
	v_add_lshl_u32 v6, v7, v10, 2
	ds_bpermute_b32 v6, v6, v5
	s_wait_dscnt 0x0
	v_add_f32_e32 v5, v5, v6
	ds_bpermute_b32 v6, v13, v5
	s_wait_dscnt 0x0
	v_add_f32_e32 v6, v5, v6
	s_and_saveexec_b32 s16, s3
; %bb.19:                               ;   in Loop: Header=BB36_13 Depth=1
	ds_store_b32 v8, v6 offset:8192
; %bb.20:                               ;   in Loop: Header=BB36_13 Depth=1
	s_or_b32 exec_lo, exec_lo, s16
	s_mov_b32 s17, 0
	s_mov_b32 s16, 0
	s_wait_dscnt 0x0
	s_barrier_signal -1
	s_barrier_wait -1
                                        ; implicit-def: $vgpr5
	s_and_saveexec_b32 s20, s1
	s_delay_alu instid0(SALU_CYCLE_1)
	s_xor_b32 s20, exec_lo, s20
	s_cbranch_execz .LBB36_22
; %bb.21:                               ;   in Loop: Header=BB36_13 Depth=1
	ds_load_2addr_b32 v[16:17], v11 offset1:1
	ds_load_b32 v5, v14 offset:8204
	s_mov_b32 s16, exec_lo
	s_wait_dscnt 0x1
	v_add_f32_e32 v6, v6, v16
	s_delay_alu instid0(VALU_DEP_1) | instskip(SKIP_1) | instid1(VALU_DEP_1)
	v_add_f32_e32 v6, v6, v17
	s_wait_dscnt 0x0
	v_add_f32_e32 v5, v6, v5
.LBB36_22:                              ;   in Loop: Header=BB36_13 Depth=1
	s_or_b32 exec_lo, exec_lo, s20
	s_delay_alu instid0(SALU_CYCLE_1)
	s_and_b32 vcc_lo, exec_lo, s17
	s_cbranch_vccnz .LBB36_25
.LBB36_23:                              ;   in Loop: Header=BB36_13 Depth=1
	s_delay_alu instid0(VALU_DEP_1)
	v_mov_b32_e32 v4, v5
	s_and_saveexec_b32 s17, s16
	s_cbranch_execnz .LBB36_26
	s_branch .LBB36_27
.LBB36_24:                              ;   in Loop: Header=BB36_13 Depth=1
	s_mov_b32 s16, 0
                                        ; implicit-def: $vgpr5
	s_cbranch_execz .LBB36_23
.LBB36_25:                              ;   in Loop: Header=BB36_13 Depth=1
	s_and_not1_b32 s16, s16, exec_lo
	s_and_b32 s17, s1, exec_lo
	s_delay_alu instid0(SALU_CYCLE_1) | instskip(NEXT) | instid1(SALU_CYCLE_1)
	s_or_b32 s16, s16, s17
	s_and_saveexec_b32 s17, s16
.LBB36_26:                              ;   in Loop: Header=BB36_13 Depth=1
	ds_store_b32 v14, v4 offset:8192
.LBB36_27:                              ;   in Loop: Header=BB36_13 Depth=1
	s_or_b32 exec_lo, exec_lo, s17
	s_wait_dscnt 0x0
	s_barrier_signal -1
	s_barrier_wait -1
	s_and_saveexec_b32 s16, s2
	s_cbranch_execz .LBB36_12
; %bb.28:                               ;   in Loop: Header=BB36_13 Depth=1
	global_load_b32 v4, v14, s[12:13]
	ds_load_b32 v6, v14 offset:8192
	s_mov_b32 s17, 0
	s_wait_loadcnt 0x0
	v_xor_b32_e32 v7, 0x80000000, v4
	v_mov_b32_e32 v15, v9
	v_mov_b64_e32 v[4:5], v[2:3]
	s_wait_dscnt 0x0
	s_delay_alu instid0(VALU_DEP_3)
	v_mul_f32_e32 v16, v6, v7
	v_mov_b64_e32 v[6:7], v[0:1]
.LBB36_29:                              ;   Parent Loop BB36_13 Depth=1
                                        ; =>  This Inner Loop Header: Depth=2
	flat_load_b32 v17, v[4:5]
	ds_load_b32 v18, v15
	v_add_nc_u64_e32 v[6:7], 0x80, v[6:7]
	v_add_nc_u32_e32 v15, 0x200, v15
	s_delay_alu instid0(VALU_DEP_2)
	v_cmp_le_i64_e32 vcc_lo, s[6:7], v[6:7]
	s_or_b32 s17, vcc_lo, s17
	s_wait_loadcnt_dscnt 0x0
	v_fmac_f32_e32 v17, v16, v18
	flat_store_b32 v[4:5], v17
	s_wait_xcnt 0x0
	v_add_nc_u64_e32 v[4:5], s[14:15], v[4:5]
	s_and_not1_b32 exec_lo, exec_lo, s17
	s_cbranch_execnz .LBB36_29
	s_branch .LBB36_12
.LBB36_30:
	s_endpgm
	.section	.rodata,"a",@progbits
	.p2align	6, 0x0
	.amdhsa_kernel _ZN9rocsolver6v33100L23larf_right_kernel_smallILi128EflPKPfEEvT1_S5_T2_lS5_lPKT0_lS6_lS5_l
		.amdhsa_group_segment_fixed_size 8208
		.amdhsa_private_segment_fixed_size 0
		.amdhsa_kernarg_size 96
		.amdhsa_user_sgpr_count 2
		.amdhsa_user_sgpr_dispatch_ptr 0
		.amdhsa_user_sgpr_queue_ptr 0
		.amdhsa_user_sgpr_kernarg_segment_ptr 1
		.amdhsa_user_sgpr_dispatch_id 0
		.amdhsa_user_sgpr_kernarg_preload_length 0
		.amdhsa_user_sgpr_kernarg_preload_offset 0
		.amdhsa_user_sgpr_private_segment_size 0
		.amdhsa_wavefront_size32 1
		.amdhsa_uses_dynamic_stack 0
		.amdhsa_enable_private_segment 0
		.amdhsa_system_sgpr_workgroup_id_x 1
		.amdhsa_system_sgpr_workgroup_id_y 1
		.amdhsa_system_sgpr_workgroup_id_z 0
		.amdhsa_system_sgpr_workgroup_info 0
		.amdhsa_system_vgpr_workitem_id 0
		.amdhsa_next_free_vgpr 19
		.amdhsa_next_free_sgpr 34
		.amdhsa_named_barrier_count 0
		.amdhsa_reserve_vcc 1
		.amdhsa_float_round_mode_32 0
		.amdhsa_float_round_mode_16_64 0
		.amdhsa_float_denorm_mode_32 3
		.amdhsa_float_denorm_mode_16_64 3
		.amdhsa_fp16_overflow 0
		.amdhsa_memory_ordered 1
		.amdhsa_forward_progress 1
		.amdhsa_inst_pref_size 12
		.amdhsa_round_robin_scheduling 0
		.amdhsa_exception_fp_ieee_invalid_op 0
		.amdhsa_exception_fp_denorm_src 0
		.amdhsa_exception_fp_ieee_div_zero 0
		.amdhsa_exception_fp_ieee_overflow 0
		.amdhsa_exception_fp_ieee_underflow 0
		.amdhsa_exception_fp_ieee_inexact 0
		.amdhsa_exception_int_div_zero 0
	.end_amdhsa_kernel
	.section	.text._ZN9rocsolver6v33100L23larf_right_kernel_smallILi128EflPKPfEEvT1_S5_T2_lS5_lPKT0_lS6_lS5_l,"axG",@progbits,_ZN9rocsolver6v33100L23larf_right_kernel_smallILi128EflPKPfEEvT1_S5_T2_lS5_lPKT0_lS6_lS5_l,comdat
.Lfunc_end36:
	.size	_ZN9rocsolver6v33100L23larf_right_kernel_smallILi128EflPKPfEEvT1_S5_T2_lS5_lPKT0_lS6_lS5_l, .Lfunc_end36-_ZN9rocsolver6v33100L23larf_right_kernel_smallILi128EflPKPfEEvT1_S5_T2_lS5_lPKT0_lS6_lS5_l
                                        ; -- End function
	.set _ZN9rocsolver6v33100L23larf_right_kernel_smallILi128EflPKPfEEvT1_S5_T2_lS5_lPKT0_lS6_lS5_l.num_vgpr, 19
	.set _ZN9rocsolver6v33100L23larf_right_kernel_smallILi128EflPKPfEEvT1_S5_T2_lS5_lPKT0_lS6_lS5_l.num_agpr, 0
	.set _ZN9rocsolver6v33100L23larf_right_kernel_smallILi128EflPKPfEEvT1_S5_T2_lS5_lPKT0_lS6_lS5_l.numbered_sgpr, 34
	.set _ZN9rocsolver6v33100L23larf_right_kernel_smallILi128EflPKPfEEvT1_S5_T2_lS5_lPKT0_lS6_lS5_l.num_named_barrier, 0
	.set _ZN9rocsolver6v33100L23larf_right_kernel_smallILi128EflPKPfEEvT1_S5_T2_lS5_lPKT0_lS6_lS5_l.private_seg_size, 0
	.set _ZN9rocsolver6v33100L23larf_right_kernel_smallILi128EflPKPfEEvT1_S5_T2_lS5_lPKT0_lS6_lS5_l.uses_vcc, 1
	.set _ZN9rocsolver6v33100L23larf_right_kernel_smallILi128EflPKPfEEvT1_S5_T2_lS5_lPKT0_lS6_lS5_l.uses_flat_scratch, 1
	.set _ZN9rocsolver6v33100L23larf_right_kernel_smallILi128EflPKPfEEvT1_S5_T2_lS5_lPKT0_lS6_lS5_l.has_dyn_sized_stack, 0
	.set _ZN9rocsolver6v33100L23larf_right_kernel_smallILi128EflPKPfEEvT1_S5_T2_lS5_lPKT0_lS6_lS5_l.has_recursion, 0
	.set _ZN9rocsolver6v33100L23larf_right_kernel_smallILi128EflPKPfEEvT1_S5_T2_lS5_lPKT0_lS6_lS5_l.has_indirect_call, 0
	.section	.AMDGPU.csdata,"",@progbits
; Kernel info:
; codeLenInByte = 1488
; TotalNumSgprs: 36
; NumVgprs: 19
; ScratchSize: 0
; MemoryBound: 0
; FloatMode: 240
; IeeeMode: 1
; LDSByteSize: 8208 bytes/workgroup (compile time only)
; SGPRBlocks: 0
; VGPRBlocks: 1
; NumSGPRsForWavesPerEU: 36
; NumVGPRsForWavesPerEU: 19
; NamedBarCnt: 0
; Occupancy: 16
; WaveLimiterHint : 1
; COMPUTE_PGM_RSRC2:SCRATCH_EN: 0
; COMPUTE_PGM_RSRC2:USER_SGPR: 2
; COMPUTE_PGM_RSRC2:TRAP_HANDLER: 0
; COMPUTE_PGM_RSRC2:TGID_X_EN: 1
; COMPUTE_PGM_RSRC2:TGID_Y_EN: 1
; COMPUTE_PGM_RSRC2:TGID_Z_EN: 0
; COMPUTE_PGM_RSRC2:TIDIG_COMP_CNT: 0
	.section	.text._ZN9rocsolver6v33100L23larf_right_kernel_smallILi256EflPKPfEEvT1_S5_T2_lS5_lPKT0_lS6_lS5_l,"axG",@progbits,_ZN9rocsolver6v33100L23larf_right_kernel_smallILi256EflPKPfEEvT1_S5_T2_lS5_lPKT0_lS6_lS5_l,comdat
	.globl	_ZN9rocsolver6v33100L23larf_right_kernel_smallILi256EflPKPfEEvT1_S5_T2_lS5_lPKT0_lS6_lS5_l ; -- Begin function _ZN9rocsolver6v33100L23larf_right_kernel_smallILi256EflPKPfEEvT1_S5_T2_lS5_lPKT0_lS6_lS5_l
	.p2align	8
	.type	_ZN9rocsolver6v33100L23larf_right_kernel_smallILi256EflPKPfEEvT1_S5_T2_lS5_lPKT0_lS6_lS5_l,@function
_ZN9rocsolver6v33100L23larf_right_kernel_smallILi256EflPKPfEEvT1_S5_T2_lS5_lPKT0_lS6_lS5_l: ; @_ZN9rocsolver6v33100L23larf_right_kernel_smallILi256EflPKPfEEvT1_S5_T2_lS5_lPKT0_lS6_lS5_l
; %bb.0:
	s_clause 0x2
	s_load_b64 s[22:23], s[0:1], 0x20
	s_load_b256 s[4:11], s[0:1], 0x0
	s_load_b256 s[12:19], s[0:1], 0x30
	s_bfe_u32 s2, ttmp6, 0x4000c
	s_and_b32 s20, ttmp6, 15
	s_add_co_i32 s2, s2, 1
	s_getreg_b32 s3, hwreg(HW_REG_IB_STS2, 6, 4)
	s_mul_i32 s2, ttmp9, s2
	s_mov_b32 s21, 0
	s_add_co_i32 s20, s20, s2
	s_cmp_eq_u32 s3, 0
	s_cselect_b32 s20, ttmp9, s20
	s_wait_kmcnt 0x0
	v_cmp_gt_i64_e64 s24, s[22:23], 0
	s_and_b32 vcc_lo, exec_lo, s24
	s_mov_b64 s[24:25], 0
	s_cbranch_vccnz .LBB37_2
; %bb.1:
	s_sub_nc_u64 s[24:25], 1, s[6:7]
	s_delay_alu instid0(SALU_CYCLE_1)
	s_mul_u64 s[24:25], s[22:23], s[24:25]
.LBB37_2:
	s_load_b64 s[16:17], s[16:17], s20 offset:0x0 scale_offset
	v_mov_b32_e32 v1, 0
	s_delay_alu instid0(VALU_DEP_1)
	v_cmp_gt_i64_e64 s2, s[6:7], v[0:1]
	s_and_saveexec_b32 s30, s2
	s_cbranch_execz .LBB37_10
; %bb.3:
	s_load_b64 s[8:9], s[8:9], s20 offset:0x0 scale_offset
	v_mov_b32_e32 v3, -1
	v_not_b32_e32 v2, v0
	v_mov_b64_e32 v[6:7], v[0:1]
	s_mov_b32 s26, -1
	s_mov_b32 s31, exec_lo
	s_delay_alu instid0(VALU_DEP_2) | instskip(NEXT) | instid1(VALU_DEP_1)
	v_add_nc_u64_e32 v[2:3], s[6:7], v[2:3]
	v_cmpx_lt_u64_e32 0xff, v[2:3]
	s_cbranch_execz .LBB37_7
; %bb.4:
	v_lshrrev_b64 v[2:3], 8, v[2:3]
	s_lshl_b64 s[26:27], s[10:11], 2
	v_or_b32_e32 v8, 0x100, v0
	s_lshl_b64 s[28:29], s[24:25], 2
	s_wait_kmcnt 0x0
	s_add_nc_u64 s[26:27], s[8:9], s[26:27]
	s_mov_b32 s33, 0
	s_add_nc_u64 s[26:27], s[26:27], s[28:29]
	v_add_nc_u64_e32 v[2:3], 1, v[2:3]
	v_mov_b32_e32 v7, 0
	s_mov_b32 s28, s22
	s_mov_b32 s29, s23
	s_delay_alu instid0(VALU_DEP_2) | instskip(NEXT) | instid1(VALU_DEP_2)
	v_dual_mov_b32 v6, v0 :: v_dual_mov_b32 v5, v3
	v_dual_mov_b32 v9, v7 :: v_dual_bitop2_b32 v4, -2, v2 bitop3:0x40
	s_delay_alu instid0(VALU_DEP_1)
	v_mov_b64_e32 v[10:11], v[4:5]
.LBB37_5:                               ; =>This Inner Loop Header: Depth=1
	s_delay_alu instid0(VALU_DEP_3) | instskip(NEXT) | instid1(VALU_DEP_3)
	v_mul_u64_e32 v[12:13], s[22:23], v[6:7]
	v_mul_u64_e32 v[14:15], s[28:29], v[8:9]
	s_delay_alu instid0(VALU_DEP_3) | instskip(NEXT) | instid1(VALU_DEP_1)
	v_add_nc_u64_e32 v[10:11], -2, v[10:11]
	v_cmp_eq_u64_e32 vcc_lo, 0, v[10:11]
	s_or_b32 s33, vcc_lo, s33
	s_delay_alu instid0(VALU_DEP_4) | instskip(NEXT) | instid1(VALU_DEP_4)
	v_lshl_add_u64 v[12:13], v[12:13], 2, s[26:27]
	v_lshl_add_u64 v[14:15], v[14:15], 2, s[26:27]
	s_clause 0x1
	flat_load_b32 v16, v[12:13]
	flat_load_b32 v17, v[14:15]
	s_wait_xcnt 0x1
	v_dual_lshlrev_b32 v12, 2, v6 :: v_dual_lshlrev_b32 v13, 2, v8
	v_add_nc_u64_e32 v[8:9], 0x200, v[8:9]
	v_add_nc_u64_e32 v[6:7], 0x200, v[6:7]
	s_wait_loadcnt_dscnt 0x101
	ds_store_b32 v12, v16
	s_wait_loadcnt_dscnt 0x1
	ds_store_b32 v13, v17
	s_wait_xcnt 0x0
	s_and_not1_b32 exec_lo, exec_lo, s33
	s_cbranch_execnz .LBB37_5
; %bb.6:
	s_or_b32 exec_lo, exec_lo, s33
	v_lshlrev_b64_e32 v[6:7], 8, v[4:5]
	v_cmp_ne_u64_e32 vcc_lo, v[2:3], v[4:5]
	s_delay_alu instid0(VALU_DEP_2)
	v_or_b32_e32 v6, v6, v0
	s_or_not1_b32 s26, vcc_lo, exec_lo
.LBB37_7:
	s_or_b32 exec_lo, exec_lo, s31
	s_delay_alu instid0(SALU_CYCLE_1)
	s_and_b32 exec_lo, exec_lo, s26
	s_cbranch_execz .LBB37_10
; %bb.8:
	v_mul_u64_e32 v[2:3], s[22:23], v[6:7]
	s_lshl_b64 s[10:11], s[10:11], 2
	s_lshl_b64 s[24:25], s[24:25], 2
	s_wait_kmcnt 0x0
	s_add_nc_u64 s[8:9], s[8:9], s[10:11]
	v_lshlrev_b32_e32 v4, 2, v6
	s_add_nc_u64 s[8:9], s[8:9], s[24:25]
	s_mov_b32 s10, 0
	s_delay_alu instid0(VALU_DEP_2)
	v_lshl_add_u64 v[2:3], v[2:3], 2, s[8:9]
	s_lshl_b64 s[8:9], s[22:23], 10
.LBB37_9:                               ; =>This Inner Loop Header: Depth=1
	flat_load_b32 v5, v[2:3]
	v_add_nc_u64_e32 v[6:7], 0x100, v[6:7]
	s_wait_xcnt 0x0
	v_add_nc_u64_e32 v[2:3], s[8:9], v[2:3]
	s_delay_alu instid0(VALU_DEP_2)
	v_cmp_le_i64_e32 vcc_lo, s[6:7], v[6:7]
	s_or_b32 s10, vcc_lo, s10
	s_wait_loadcnt_dscnt 0x0
	ds_store_b32 v4, v5
	v_add_nc_u32_e32 v4, 0x400, v4
	s_and_not1_b32 exec_lo, exec_lo, s10
	s_cbranch_execnz .LBB37_9
.LBB37_10:
	s_or_b32 exec_lo, exec_lo, s30
	s_wait_kmcnt 0x0
	s_bfe_u32 s8, ttmp6, 0x40010
	s_bfe_u32 s9, ttmp6, 0x40004
	s_add_co_i32 s8, s8, 1
	s_wait_dscnt 0x0
	s_mul_i32 s8, ttmp7, s8
	s_barrier_signal -1
	s_add_co_i32 s8, s9, s8
	s_cmp_eq_u32 s3, 0
	s_mov_b32 s9, 0
	s_cselect_b32 s8, ttmp7, s8
	s_barrier_wait -1
	v_cmp_le_i64_e64 s3, s[4:5], s[8:9]
	s_and_b32 vcc_lo, exec_lo, s3
	s_cbranch_vccnz .LBB37_30
; %bb.11:
	s_load_b64 s[22:23], s[0:1], 0x50
	s_mul_u64 s[10:11], s[14:15], s[20:21]
	s_lshl_b64 s[24:25], s[18:19], 2
	s_lshl_b64 s[14:15], s[10:11], 2
	s_cmp_gt_i32 s6, 1
	v_dual_lshrrev_b32 v8, 3, v0 :: v_dual_bitop2_b32 v4, 31, v0 bitop3:0x40
	s_cselect_b32 s18, -1, 0
	s_lshl_b64 s[20:21], s[8:9], 2
	v_mbcnt_lo_u32_b32 v10, -1, 0
	s_add_nc_u64 s[10:11], s[16:17], s[24:25]
	s_add_nc_u64 s[16:17], s[16:17], s[20:21]
	s_wait_xcnt 0x0
	v_cmp_gt_i32_e64 s0, s6, v0
	s_add_nc_u64 s[16:17], s[16:17], s[24:25]
	v_cmp_eq_u32_e64 s1, 0, v0
	v_dual_mov_b32 v12, 0x200c :: v_dual_lshlrev_b32 v9, 2, v0
	v_dual_mov_b32 v11, 0x2004 :: v_dual_mov_b32 v16, 0
	v_mov_b32_e32 v13, 0x2014
	s_wait_kmcnt 0x0
	v_mul_u64_e32 v[2:3], s[22:23], v[0:1]
	v_mul_lo_u32 v14, v0, s22
	v_cmp_eq_u32_e64 s3, 0, v4
	v_lshl_or_b32 v15, v10, 2, 64
	s_add_nc_u64 s[12:13], s[12:13], s[14:15]
	s_lshl_b32 s19, s22, 8
	s_lshl_b64 s[14:15], s[22:23], 10
	v_lshl_add_u64 v[2:3], v[2:3], 2, s[16:17]
	s_branch .LBB37_13
.LBB37_12:                              ;   in Loop: Header=BB37_13 Depth=1
	s_or_b32 exec_lo, exec_lo, s16
	s_add_nc_u64 s[8:9], s[8:9], 64
	v_add_nc_u64_e32 v[2:3], 0x100, v[2:3]
	v_cmp_ge_i64_e64 s16, s[8:9], s[4:5]
	s_and_b32 vcc_lo, exec_lo, s16
	s_cbranch_vccnz .LBB37_30
.LBB37_13:                              ; =>This Loop Header: Depth=1
                                        ;     Child Loop BB37_15 Depth 2
                                        ;     Child Loop BB37_29 Depth 2
	v_mov_b32_e32 v4, 0
	s_and_saveexec_b32 s20, s0
	s_cbranch_execz .LBB37_17
; %bb.14:                               ;   in Loop: Header=BB37_13 Depth=1
	v_dual_mov_b32 v4, 0 :: v_dual_mov_b32 v5, v14
	v_dual_mov_b32 v6, v9 :: v_dual_mov_b32 v7, v0
	s_lshl_b64 s[16:17], s[8:9], 2
	s_mov_b32 s21, 0
	s_add_nc_u64 s[16:17], s[10:11], s[16:17]
.LBB37_15:                              ;   Parent Loop BB37_13 Depth=1
                                        ; =>  This Inner Loop Header: Depth=2
	flat_load_b32 v17, v5, s[16:17] scale_offset
	ds_load_b32 v18, v6
	v_add_nc_u32_e32 v7, 0x100, v7
	v_add_nc_u32_e32 v6, 0x400, v6
	s_wait_xcnt 0x0
	v_add_nc_u32_e32 v5, s19, v5
	s_wait_loadcnt_dscnt 0x0
	v_fmac_f32_e32 v4, v18, v17
	v_cmp_le_i32_e32 vcc_lo, s6, v7
	s_or_b32 s21, vcc_lo, s21
	s_delay_alu instid0(SALU_CYCLE_1)
	s_and_not1_b32 exec_lo, exec_lo, s21
	s_cbranch_execnz .LBB37_15
; %bb.16:                               ;   in Loop: Header=BB37_13 Depth=1
	s_or_b32 exec_lo, exec_lo, s21
.LBB37_17:                              ;   in Loop: Header=BB37_13 Depth=1
	s_delay_alu instid0(SALU_CYCLE_1) | instskip(NEXT) | instid1(SALU_CYCLE_1)
	s_or_b32 exec_lo, exec_lo, s20
	s_and_b32 vcc_lo, exec_lo, s18
	s_cbranch_vccz .LBB37_24
; %bb.18:                               ;   in Loop: Header=BB37_13 Depth=1
	v_cmp_ne_u32_e32 vcc_lo, 31, v10
	v_add_co_ci_u32_e64 v5, null, 0, v10, vcc_lo
	v_cmp_gt_u32_e32 vcc_lo, 30, v10
	s_delay_alu instid0(VALU_DEP_2)
	v_lshlrev_b32_e32 v5, 2, v5
	v_cndmask_b32_e64 v6, 0, 2, vcc_lo
	v_cmp_gt_u32_e32 vcc_lo, 28, v10
	ds_bpermute_b32 v5, v5, v4
	v_add_lshl_u32 v6, v6, v10, 2
	v_cndmask_b32_e64 v7, 0, 4, vcc_lo
	v_cmp_gt_u32_e32 vcc_lo, 24, v10
	s_delay_alu instid0(VALU_DEP_2)
	v_add_lshl_u32 v7, v7, v10, 2
	s_wait_dscnt 0x0
	v_add_f32_e32 v5, v4, v5
	ds_bpermute_b32 v6, v6, v5
	s_wait_dscnt 0x0
	v_add_f32_e32 v5, v5, v6
	ds_bpermute_b32 v6, v7, v5
	v_cndmask_b32_e64 v7, 0, 8, vcc_lo
	s_wait_dscnt 0x0
	v_add_f32_e32 v5, v5, v6
	s_delay_alu instid0(VALU_DEP_2)
	v_add_lshl_u32 v6, v7, v10, 2
	ds_bpermute_b32 v6, v6, v5
	s_wait_dscnt 0x0
	v_add_f32_e32 v5, v5, v6
	ds_bpermute_b32 v6, v15, v5
	s_wait_dscnt 0x0
	v_add_f32_e32 v5, v5, v6
	s_and_saveexec_b32 s16, s3
; %bb.19:                               ;   in Loop: Header=BB37_13 Depth=1
	ds_store_b32 v8, v5 offset:8192
; %bb.20:                               ;   in Loop: Header=BB37_13 Depth=1
	s_or_b32 exec_lo, exec_lo, s16
	s_mov_b32 s17, 0
	s_mov_b32 s16, 0
	s_wait_dscnt 0x0
	s_barrier_signal -1
	s_barrier_wait -1
                                        ; implicit-def: $vgpr6
	s_and_saveexec_b32 s20, s1
	s_delay_alu instid0(SALU_CYCLE_1)
	s_xor_b32 s20, exec_lo, s20
	s_cbranch_execz .LBB37_22
; %bb.21:                               ;   in Loop: Header=BB37_13 Depth=1
	ds_load_2addr_b32 v[6:7], v11 offset1:1
	ds_load_2addr_b32 v[18:19], v12 offset1:1
	;; [unrolled: 1-line block ×3, first 2 shown]
	ds_load_b32 v17, v16 offset:8220
	s_mov_b32 s16, exec_lo
	s_wait_dscnt 0x3
	v_add_f32_e32 v5, v5, v6
	s_delay_alu instid0(VALU_DEP_1) | instskip(SKIP_1) | instid1(VALU_DEP_1)
	v_add_f32_e32 v5, v5, v7
	s_wait_dscnt 0x2
	v_add_f32_e32 v5, v5, v18
	s_delay_alu instid0(VALU_DEP_1) | instskip(SKIP_1) | instid1(VALU_DEP_1)
	v_add_f32_e32 v5, v5, v19
	;; [unrolled: 4-line block ×3, first 2 shown]
	s_wait_dscnt 0x0
	v_add_f32_e32 v6, v5, v17
.LBB37_22:                              ;   in Loop: Header=BB37_13 Depth=1
	s_or_b32 exec_lo, exec_lo, s20
	s_delay_alu instid0(SALU_CYCLE_1)
	s_and_b32 vcc_lo, exec_lo, s17
	s_cbranch_vccnz .LBB37_25
.LBB37_23:                              ;   in Loop: Header=BB37_13 Depth=1
	s_delay_alu instid0(VALU_DEP_1)
	v_mov_b32_e32 v4, v6
	s_and_saveexec_b32 s17, s16
	s_cbranch_execnz .LBB37_26
	s_branch .LBB37_27
.LBB37_24:                              ;   in Loop: Header=BB37_13 Depth=1
	s_mov_b32 s16, 0
                                        ; implicit-def: $vgpr6
	s_cbranch_execz .LBB37_23
.LBB37_25:                              ;   in Loop: Header=BB37_13 Depth=1
	s_and_not1_b32 s16, s16, exec_lo
	s_and_b32 s17, s1, exec_lo
	s_delay_alu instid0(SALU_CYCLE_1) | instskip(NEXT) | instid1(SALU_CYCLE_1)
	s_or_b32 s16, s16, s17
	s_and_saveexec_b32 s17, s16
.LBB37_26:                              ;   in Loop: Header=BB37_13 Depth=1
	ds_store_b32 v16, v4 offset:8192
.LBB37_27:                              ;   in Loop: Header=BB37_13 Depth=1
	s_or_b32 exec_lo, exec_lo, s17
	s_wait_dscnt 0x0
	s_barrier_signal -1
	s_barrier_wait -1
	s_and_saveexec_b32 s16, s2
	s_cbranch_execz .LBB37_12
; %bb.28:                               ;   in Loop: Header=BB37_13 Depth=1
	global_load_b32 v4, v16, s[12:13]
	ds_load_b32 v6, v16 offset:8192
	s_mov_b32 s17, 0
	s_wait_loadcnt 0x0
	v_xor_b32_e32 v7, 0x80000000, v4
	v_mov_b32_e32 v17, v9
	v_mov_b64_e32 v[4:5], v[2:3]
	s_wait_dscnt 0x0
	s_delay_alu instid0(VALU_DEP_3)
	v_mul_f32_e32 v18, v6, v7
	v_mov_b64_e32 v[6:7], v[0:1]
.LBB37_29:                              ;   Parent Loop BB37_13 Depth=1
                                        ; =>  This Inner Loop Header: Depth=2
	flat_load_b32 v19, v[4:5]
	ds_load_b32 v20, v17
	v_add_nc_u64_e32 v[6:7], 0x100, v[6:7]
	v_add_nc_u32_e32 v17, 0x400, v17
	s_delay_alu instid0(VALU_DEP_2)
	v_cmp_le_i64_e32 vcc_lo, s[6:7], v[6:7]
	s_or_b32 s17, vcc_lo, s17
	s_wait_loadcnt_dscnt 0x0
	v_fmac_f32_e32 v19, v18, v20
	flat_store_b32 v[4:5], v19
	s_wait_xcnt 0x0
	v_add_nc_u64_e32 v[4:5], s[14:15], v[4:5]
	s_and_not1_b32 exec_lo, exec_lo, s17
	s_cbranch_execnz .LBB37_29
	s_branch .LBB37_12
.LBB37_30:
	s_endpgm
	.section	.rodata,"a",@progbits
	.p2align	6, 0x0
	.amdhsa_kernel _ZN9rocsolver6v33100L23larf_right_kernel_smallILi256EflPKPfEEvT1_S5_T2_lS5_lPKT0_lS6_lS5_l
		.amdhsa_group_segment_fixed_size 8224
		.amdhsa_private_segment_fixed_size 0
		.amdhsa_kernarg_size 96
		.amdhsa_user_sgpr_count 2
		.amdhsa_user_sgpr_dispatch_ptr 0
		.amdhsa_user_sgpr_queue_ptr 0
		.amdhsa_user_sgpr_kernarg_segment_ptr 1
		.amdhsa_user_sgpr_dispatch_id 0
		.amdhsa_user_sgpr_kernarg_preload_length 0
		.amdhsa_user_sgpr_kernarg_preload_offset 0
		.amdhsa_user_sgpr_private_segment_size 0
		.amdhsa_wavefront_size32 1
		.amdhsa_uses_dynamic_stack 0
		.amdhsa_enable_private_segment 0
		.amdhsa_system_sgpr_workgroup_id_x 1
		.amdhsa_system_sgpr_workgroup_id_y 1
		.amdhsa_system_sgpr_workgroup_id_z 0
		.amdhsa_system_sgpr_workgroup_info 0
		.amdhsa_system_vgpr_workitem_id 0
		.amdhsa_next_free_vgpr 22
		.amdhsa_next_free_sgpr 34
		.amdhsa_named_barrier_count 0
		.amdhsa_reserve_vcc 1
		.amdhsa_float_round_mode_32 0
		.amdhsa_float_round_mode_16_64 0
		.amdhsa_float_denorm_mode_32 3
		.amdhsa_float_denorm_mode_16_64 3
		.amdhsa_fp16_overflow 0
		.amdhsa_memory_ordered 1
		.amdhsa_forward_progress 1
		.amdhsa_inst_pref_size 13
		.amdhsa_round_robin_scheduling 0
		.amdhsa_exception_fp_ieee_invalid_op 0
		.amdhsa_exception_fp_denorm_src 0
		.amdhsa_exception_fp_ieee_div_zero 0
		.amdhsa_exception_fp_ieee_overflow 0
		.amdhsa_exception_fp_ieee_underflow 0
		.amdhsa_exception_fp_ieee_inexact 0
		.amdhsa_exception_int_div_zero 0
	.end_amdhsa_kernel
	.section	.text._ZN9rocsolver6v33100L23larf_right_kernel_smallILi256EflPKPfEEvT1_S5_T2_lS5_lPKT0_lS6_lS5_l,"axG",@progbits,_ZN9rocsolver6v33100L23larf_right_kernel_smallILi256EflPKPfEEvT1_S5_T2_lS5_lPKT0_lS6_lS5_l,comdat
.Lfunc_end37:
	.size	_ZN9rocsolver6v33100L23larf_right_kernel_smallILi256EflPKPfEEvT1_S5_T2_lS5_lPKT0_lS6_lS5_l, .Lfunc_end37-_ZN9rocsolver6v33100L23larf_right_kernel_smallILi256EflPKPfEEvT1_S5_T2_lS5_lPKT0_lS6_lS5_l
                                        ; -- End function
	.set _ZN9rocsolver6v33100L23larf_right_kernel_smallILi256EflPKPfEEvT1_S5_T2_lS5_lPKT0_lS6_lS5_l.num_vgpr, 22
	.set _ZN9rocsolver6v33100L23larf_right_kernel_smallILi256EflPKPfEEvT1_S5_T2_lS5_lPKT0_lS6_lS5_l.num_agpr, 0
	.set _ZN9rocsolver6v33100L23larf_right_kernel_smallILi256EflPKPfEEvT1_S5_T2_lS5_lPKT0_lS6_lS5_l.numbered_sgpr, 34
	.set _ZN9rocsolver6v33100L23larf_right_kernel_smallILi256EflPKPfEEvT1_S5_T2_lS5_lPKT0_lS6_lS5_l.num_named_barrier, 0
	.set _ZN9rocsolver6v33100L23larf_right_kernel_smallILi256EflPKPfEEvT1_S5_T2_lS5_lPKT0_lS6_lS5_l.private_seg_size, 0
	.set _ZN9rocsolver6v33100L23larf_right_kernel_smallILi256EflPKPfEEvT1_S5_T2_lS5_lPKT0_lS6_lS5_l.uses_vcc, 1
	.set _ZN9rocsolver6v33100L23larf_right_kernel_smallILi256EflPKPfEEvT1_S5_T2_lS5_lPKT0_lS6_lS5_l.uses_flat_scratch, 1
	.set _ZN9rocsolver6v33100L23larf_right_kernel_smallILi256EflPKPfEEvT1_S5_T2_lS5_lPKT0_lS6_lS5_l.has_dyn_sized_stack, 0
	.set _ZN9rocsolver6v33100L23larf_right_kernel_smallILi256EflPKPfEEvT1_S5_T2_lS5_lPKT0_lS6_lS5_l.has_recursion, 0
	.set _ZN9rocsolver6v33100L23larf_right_kernel_smallILi256EflPKPfEEvT1_S5_T2_lS5_lPKT0_lS6_lS5_l.has_indirect_call, 0
	.section	.AMDGPU.csdata,"",@progbits
; Kernel info:
; codeLenInByte = 1544
; TotalNumSgprs: 36
; NumVgprs: 22
; ScratchSize: 0
; MemoryBound: 0
; FloatMode: 240
; IeeeMode: 1
; LDSByteSize: 8224 bytes/workgroup (compile time only)
; SGPRBlocks: 0
; VGPRBlocks: 1
; NumSGPRsForWavesPerEU: 36
; NumVGPRsForWavesPerEU: 22
; NamedBarCnt: 0
; Occupancy: 16
; WaveLimiterHint : 1
; COMPUTE_PGM_RSRC2:SCRATCH_EN: 0
; COMPUTE_PGM_RSRC2:USER_SGPR: 2
; COMPUTE_PGM_RSRC2:TRAP_HANDLER: 0
; COMPUTE_PGM_RSRC2:TGID_X_EN: 1
; COMPUTE_PGM_RSRC2:TGID_Y_EN: 1
; COMPUTE_PGM_RSRC2:TGID_Z_EN: 0
; COMPUTE_PGM_RSRC2:TIDIG_COMP_CNT: 0
	.section	.text._ZN9rocsolver6v33100L23larf_right_kernel_smallILi512EflPKPfEEvT1_S5_T2_lS5_lPKT0_lS6_lS5_l,"axG",@progbits,_ZN9rocsolver6v33100L23larf_right_kernel_smallILi512EflPKPfEEvT1_S5_T2_lS5_lPKT0_lS6_lS5_l,comdat
	.globl	_ZN9rocsolver6v33100L23larf_right_kernel_smallILi512EflPKPfEEvT1_S5_T2_lS5_lPKT0_lS6_lS5_l ; -- Begin function _ZN9rocsolver6v33100L23larf_right_kernel_smallILi512EflPKPfEEvT1_S5_T2_lS5_lPKT0_lS6_lS5_l
	.p2align	8
	.type	_ZN9rocsolver6v33100L23larf_right_kernel_smallILi512EflPKPfEEvT1_S5_T2_lS5_lPKT0_lS6_lS5_l,@function
_ZN9rocsolver6v33100L23larf_right_kernel_smallILi512EflPKPfEEvT1_S5_T2_lS5_lPKT0_lS6_lS5_l: ; @_ZN9rocsolver6v33100L23larf_right_kernel_smallILi512EflPKPfEEvT1_S5_T2_lS5_lPKT0_lS6_lS5_l
; %bb.0:
	s_clause 0x2
	s_load_b64 s[22:23], s[0:1], 0x20
	s_load_b256 s[4:11], s[0:1], 0x0
	s_load_b256 s[12:19], s[0:1], 0x30
	s_bfe_u32 s2, ttmp6, 0x4000c
	s_and_b32 s20, ttmp6, 15
	s_add_co_i32 s2, s2, 1
	s_getreg_b32 s3, hwreg(HW_REG_IB_STS2, 6, 4)
	s_mul_i32 s2, ttmp9, s2
	s_mov_b32 s21, 0
	s_add_co_i32 s20, s20, s2
	s_cmp_eq_u32 s3, 0
	s_cselect_b32 s20, ttmp9, s20
	s_wait_kmcnt 0x0
	v_cmp_gt_i64_e64 s24, s[22:23], 0
	s_and_b32 vcc_lo, exec_lo, s24
	s_mov_b64 s[24:25], 0
	s_cbranch_vccnz .LBB38_2
; %bb.1:
	s_sub_nc_u64 s[24:25], 1, s[6:7]
	s_delay_alu instid0(SALU_CYCLE_1)
	s_mul_u64 s[24:25], s[22:23], s[24:25]
.LBB38_2:
	s_load_b64 s[16:17], s[16:17], s20 offset:0x0 scale_offset
	v_mov_b32_e32 v1, 0
	s_delay_alu instid0(VALU_DEP_1)
	v_cmp_gt_i64_e64 s2, s[6:7], v[0:1]
	s_and_saveexec_b32 s30, s2
	s_cbranch_execz .LBB38_10
; %bb.3:
	s_load_b64 s[8:9], s[8:9], s20 offset:0x0 scale_offset
	v_mov_b32_e32 v3, -1
	v_not_b32_e32 v2, v0
	v_mov_b64_e32 v[6:7], v[0:1]
	s_mov_b32 s26, -1
	s_mov_b32 s31, exec_lo
	s_delay_alu instid0(VALU_DEP_2) | instskip(NEXT) | instid1(VALU_DEP_1)
	v_add_nc_u64_e32 v[2:3], s[6:7], v[2:3]
	v_cmpx_lt_u64_e32 0x1ff, v[2:3]
	s_cbranch_execz .LBB38_7
; %bb.4:
	v_lshrrev_b64 v[2:3], 9, v[2:3]
	s_lshl_b64 s[26:27], s[10:11], 2
	v_or_b32_e32 v8, 0x200, v0
	s_lshl_b64 s[28:29], s[24:25], 2
	s_wait_kmcnt 0x0
	s_add_nc_u64 s[26:27], s[8:9], s[26:27]
	s_mov_b32 s33, 0
	s_add_nc_u64 s[26:27], s[26:27], s[28:29]
	v_add_nc_u64_e32 v[2:3], 1, v[2:3]
	v_mov_b32_e32 v7, 0
	s_mov_b32 s28, s22
	s_mov_b32 s29, s23
	s_delay_alu instid0(VALU_DEP_2) | instskip(NEXT) | instid1(VALU_DEP_2)
	v_dual_mov_b32 v6, v0 :: v_dual_mov_b32 v5, v3
	v_dual_mov_b32 v9, v7 :: v_dual_bitop2_b32 v4, -2, v2 bitop3:0x40
	s_delay_alu instid0(VALU_DEP_1)
	v_mov_b64_e32 v[10:11], v[4:5]
.LBB38_5:                               ; =>This Inner Loop Header: Depth=1
	s_delay_alu instid0(VALU_DEP_3) | instskip(NEXT) | instid1(VALU_DEP_3)
	v_mul_u64_e32 v[12:13], s[22:23], v[6:7]
	v_mul_u64_e32 v[14:15], s[28:29], v[8:9]
	s_delay_alu instid0(VALU_DEP_3) | instskip(NEXT) | instid1(VALU_DEP_1)
	v_add_nc_u64_e32 v[10:11], -2, v[10:11]
	v_cmp_eq_u64_e32 vcc_lo, 0, v[10:11]
	s_or_b32 s33, vcc_lo, s33
	s_delay_alu instid0(VALU_DEP_4) | instskip(NEXT) | instid1(VALU_DEP_4)
	v_lshl_add_u64 v[12:13], v[12:13], 2, s[26:27]
	v_lshl_add_u64 v[14:15], v[14:15], 2, s[26:27]
	s_clause 0x1
	flat_load_b32 v16, v[12:13]
	flat_load_b32 v17, v[14:15]
	s_wait_xcnt 0x1
	v_dual_lshlrev_b32 v12, 2, v6 :: v_dual_lshlrev_b32 v13, 2, v8
	v_add_nc_u64_e32 v[8:9], 0x400, v[8:9]
	v_add_nc_u64_e32 v[6:7], 0x400, v[6:7]
	s_wait_loadcnt_dscnt 0x101
	ds_store_b32 v12, v16
	s_wait_loadcnt_dscnt 0x1
	ds_store_b32 v13, v17
	s_wait_xcnt 0x0
	s_and_not1_b32 exec_lo, exec_lo, s33
	s_cbranch_execnz .LBB38_5
; %bb.6:
	s_or_b32 exec_lo, exec_lo, s33
	v_lshlrev_b64_e32 v[6:7], 9, v[4:5]
	v_cmp_ne_u64_e32 vcc_lo, v[2:3], v[4:5]
	s_delay_alu instid0(VALU_DEP_2)
	v_or_b32_e32 v6, v6, v0
	s_or_not1_b32 s26, vcc_lo, exec_lo
.LBB38_7:
	s_or_b32 exec_lo, exec_lo, s31
	s_delay_alu instid0(SALU_CYCLE_1)
	s_and_b32 exec_lo, exec_lo, s26
	s_cbranch_execz .LBB38_10
; %bb.8:
	v_mul_u64_e32 v[2:3], s[22:23], v[6:7]
	s_lshl_b64 s[10:11], s[10:11], 2
	s_lshl_b64 s[24:25], s[24:25], 2
	s_wait_kmcnt 0x0
	s_add_nc_u64 s[8:9], s[8:9], s[10:11]
	v_lshlrev_b32_e32 v4, 2, v6
	s_add_nc_u64 s[8:9], s[8:9], s[24:25]
	s_mov_b32 s10, 0
	s_delay_alu instid0(VALU_DEP_2)
	v_lshl_add_u64 v[2:3], v[2:3], 2, s[8:9]
	s_lshl_b64 s[8:9], s[22:23], 11
.LBB38_9:                               ; =>This Inner Loop Header: Depth=1
	flat_load_b32 v5, v[2:3]
	v_add_nc_u64_e32 v[6:7], 0x200, v[6:7]
	s_wait_xcnt 0x0
	v_add_nc_u64_e32 v[2:3], s[8:9], v[2:3]
	s_delay_alu instid0(VALU_DEP_2)
	v_cmp_le_i64_e32 vcc_lo, s[6:7], v[6:7]
	s_or_b32 s10, vcc_lo, s10
	s_wait_loadcnt_dscnt 0x0
	ds_store_b32 v4, v5
	v_add_nc_u32_e32 v4, 0x800, v4
	s_and_not1_b32 exec_lo, exec_lo, s10
	s_cbranch_execnz .LBB38_9
.LBB38_10:
	s_or_b32 exec_lo, exec_lo, s30
	s_wait_kmcnt 0x0
	s_bfe_u32 s8, ttmp6, 0x40010
	s_bfe_u32 s9, ttmp6, 0x40004
	s_add_co_i32 s8, s8, 1
	s_wait_dscnt 0x0
	s_mul_i32 s8, ttmp7, s8
	s_barrier_signal -1
	s_add_co_i32 s8, s9, s8
	s_cmp_eq_u32 s3, 0
	s_mov_b32 s9, 0
	s_cselect_b32 s8, ttmp7, s8
	s_barrier_wait -1
	v_cmp_le_i64_e64 s3, s[4:5], s[8:9]
	s_and_b32 vcc_lo, exec_lo, s3
	s_cbranch_vccnz .LBB38_30
; %bb.11:
	s_load_b64 s[22:23], s[0:1], 0x50
	s_mul_u64 s[10:11], s[14:15], s[20:21]
	s_lshl_b64 s[24:25], s[18:19], 2
	s_lshl_b64 s[14:15], s[10:11], 2
	s_cmp_gt_i32 s6, 1
	v_dual_lshrrev_b32 v8, 3, v0 :: v_dual_bitop2_b32 v4, 31, v0 bitop3:0x40
	s_cselect_b32 s18, -1, 0
	s_lshl_b64 s[20:21], s[8:9], 2
	v_mbcnt_lo_u32_b32 v10, -1, 0
	s_add_nc_u64 s[10:11], s[16:17], s[24:25]
	s_add_nc_u64 s[16:17], s[16:17], s[20:21]
	s_wait_xcnt 0x0
	v_cmp_gt_i32_e64 s0, s6, v0
	s_add_nc_u64 s[16:17], s[16:17], s[24:25]
	v_cmp_eq_u32_e64 s1, 0, v0
	v_dual_mov_b32 v12, 0x200c :: v_dual_lshlrev_b32 v9, 2, v0
	v_dual_mov_b32 v11, 0x2004 :: v_dual_mov_b32 v20, 0
	v_mov_b32_e32 v13, 0x2014
	s_wait_kmcnt 0x0
	v_mul_u64_e32 v[2:3], s[22:23], v[0:1]
	v_mul_lo_u32 v18, v0, s22
	v_mov_b32_e32 v14, 0x201c
	v_mov_b32_e32 v15, 0x2024
	;; [unrolled: 1-line block ×4, first 2 shown]
	v_cmp_eq_u32_e64 s3, 0, v4
	v_lshl_or_b32 v19, v10, 2, 64
	s_add_nc_u64 s[12:13], s[12:13], s[14:15]
	s_lshl_b32 s19, s22, 9
	s_lshl_b64 s[14:15], s[22:23], 11
	v_lshl_add_u64 v[2:3], v[2:3], 2, s[16:17]
	s_branch .LBB38_13
.LBB38_12:                              ;   in Loop: Header=BB38_13 Depth=1
	s_or_b32 exec_lo, exec_lo, s16
	s_add_nc_u64 s[8:9], s[8:9], 64
	v_add_nc_u64_e32 v[2:3], 0x100, v[2:3]
	v_cmp_ge_i64_e64 s16, s[8:9], s[4:5]
	s_and_b32 vcc_lo, exec_lo, s16
	s_cbranch_vccnz .LBB38_30
.LBB38_13:                              ; =>This Loop Header: Depth=1
                                        ;     Child Loop BB38_15 Depth 2
                                        ;     Child Loop BB38_29 Depth 2
	v_mov_b32_e32 v4, 0
	s_and_saveexec_b32 s20, s0
	s_cbranch_execz .LBB38_17
; %bb.14:                               ;   in Loop: Header=BB38_13 Depth=1
	v_dual_mov_b32 v4, 0 :: v_dual_mov_b32 v5, v18
	v_dual_mov_b32 v6, v9 :: v_dual_mov_b32 v7, v0
	s_lshl_b64 s[16:17], s[8:9], 2
	s_mov_b32 s21, 0
	s_add_nc_u64 s[16:17], s[10:11], s[16:17]
.LBB38_15:                              ;   Parent Loop BB38_13 Depth=1
                                        ; =>  This Inner Loop Header: Depth=2
	flat_load_b32 v21, v5, s[16:17] scale_offset
	ds_load_b32 v22, v6
	v_add_nc_u32_e32 v7, 0x200, v7
	v_add_nc_u32_e32 v6, 0x800, v6
	s_wait_xcnt 0x0
	v_add_nc_u32_e32 v5, s19, v5
	s_wait_loadcnt_dscnt 0x0
	v_fmac_f32_e32 v4, v22, v21
	v_cmp_le_i32_e32 vcc_lo, s6, v7
	s_or_b32 s21, vcc_lo, s21
	s_delay_alu instid0(SALU_CYCLE_1)
	s_and_not1_b32 exec_lo, exec_lo, s21
	s_cbranch_execnz .LBB38_15
; %bb.16:                               ;   in Loop: Header=BB38_13 Depth=1
	s_or_b32 exec_lo, exec_lo, s21
.LBB38_17:                              ;   in Loop: Header=BB38_13 Depth=1
	s_delay_alu instid0(SALU_CYCLE_1) | instskip(NEXT) | instid1(SALU_CYCLE_1)
	s_or_b32 exec_lo, exec_lo, s20
	s_and_b32 vcc_lo, exec_lo, s18
	s_cbranch_vccz .LBB38_24
; %bb.18:                               ;   in Loop: Header=BB38_13 Depth=1
	v_cmp_ne_u32_e32 vcc_lo, 31, v10
	v_add_co_ci_u32_e64 v5, null, 0, v10, vcc_lo
	v_cmp_gt_u32_e32 vcc_lo, 30, v10
	s_delay_alu instid0(VALU_DEP_2)
	v_lshlrev_b32_e32 v5, 2, v5
	v_cndmask_b32_e64 v6, 0, 2, vcc_lo
	v_cmp_gt_u32_e32 vcc_lo, 28, v10
	ds_bpermute_b32 v5, v5, v4
	v_add_lshl_u32 v6, v6, v10, 2
	v_cndmask_b32_e64 v7, 0, 4, vcc_lo
	v_cmp_gt_u32_e32 vcc_lo, 24, v10
	s_delay_alu instid0(VALU_DEP_2)
	v_add_lshl_u32 v7, v7, v10, 2
	s_wait_dscnt 0x0
	v_add_f32_e32 v5, v4, v5
	ds_bpermute_b32 v6, v6, v5
	s_wait_dscnt 0x0
	v_add_f32_e32 v5, v5, v6
	ds_bpermute_b32 v6, v7, v5
	v_cndmask_b32_e64 v7, 0, 8, vcc_lo
	s_wait_dscnt 0x0
	v_add_f32_e32 v5, v5, v6
	s_delay_alu instid0(VALU_DEP_2)
	v_add_lshl_u32 v6, v7, v10, 2
	ds_bpermute_b32 v6, v6, v5
	s_wait_dscnt 0x0
	v_add_f32_e32 v5, v5, v6
	ds_bpermute_b32 v6, v19, v5
	s_wait_dscnt 0x0
	v_add_f32_e32 v5, v5, v6
	s_and_saveexec_b32 s16, s3
; %bb.19:                               ;   in Loop: Header=BB38_13 Depth=1
	ds_store_b32 v8, v5 offset:8192
; %bb.20:                               ;   in Loop: Header=BB38_13 Depth=1
	s_or_b32 exec_lo, exec_lo, s16
	s_mov_b32 s17, 0
	s_mov_b32 s16, 0
	s_wait_dscnt 0x0
	s_barrier_signal -1
	s_barrier_wait -1
                                        ; implicit-def: $vgpr6
	s_and_saveexec_b32 s20, s1
	s_delay_alu instid0(SALU_CYCLE_1)
	s_xor_b32 s20, exec_lo, s20
	s_cbranch_execz .LBB38_22
; %bb.21:                               ;   in Loop: Header=BB38_13 Depth=1
	ds_load_2addr_b32 v[6:7], v11 offset1:1
	ds_load_2addr_b32 v[22:23], v12 offset1:1
	;; [unrolled: 1-line block ×4, first 2 shown]
	s_mov_b32 s16, exec_lo
	s_wait_dscnt 0x3
	v_add_f32_e32 v5, v5, v6
	s_delay_alu instid0(VALU_DEP_1) | instskip(SKIP_3) | instid1(VALU_DEP_1)
	v_add_f32_e32 v5, v5, v7
	ds_load_2addr_b32 v[6:7], v15 offset1:1
	s_wait_dscnt 0x3
	v_add_f32_e32 v5, v5, v22
	v_add_f32_e32 v5, v5, v23
	ds_load_2addr_b32 v[22:23], v16 offset1:1
	s_wait_dscnt 0x3
	v_add_f32_e32 v5, v5, v24
	s_delay_alu instid0(VALU_DEP_1) | instskip(SKIP_4) | instid1(VALU_DEP_1)
	v_add_f32_e32 v5, v5, v25
	ds_load_2addr_b32 v[24:25], v17 offset1:1
	ds_load_b32 v21, v20 offset:8252
	s_wait_dscnt 0x4
	v_add_f32_e32 v5, v5, v26
	v_add_f32_e32 v5, v5, v27
	s_wait_dscnt 0x3
	s_delay_alu instid0(VALU_DEP_1) | instskip(NEXT) | instid1(VALU_DEP_1)
	v_add_f32_e32 v5, v5, v6
	v_add_f32_e32 v5, v5, v7
	s_wait_dscnt 0x2
	s_delay_alu instid0(VALU_DEP_1) | instskip(NEXT) | instid1(VALU_DEP_1)
	;; [unrolled: 4-line block ×3, first 2 shown]
	v_add_f32_e32 v5, v5, v24
	v_add_f32_e32 v5, v5, v25
	s_wait_dscnt 0x0
	s_delay_alu instid0(VALU_DEP_1)
	v_add_f32_e32 v6, v5, v21
.LBB38_22:                              ;   in Loop: Header=BB38_13 Depth=1
	s_or_b32 exec_lo, exec_lo, s20
	s_delay_alu instid0(SALU_CYCLE_1)
	s_and_b32 vcc_lo, exec_lo, s17
	s_cbranch_vccnz .LBB38_25
.LBB38_23:                              ;   in Loop: Header=BB38_13 Depth=1
	s_delay_alu instid0(VALU_DEP_1)
	v_mov_b32_e32 v4, v6
	s_and_saveexec_b32 s17, s16
	s_cbranch_execnz .LBB38_26
	s_branch .LBB38_27
.LBB38_24:                              ;   in Loop: Header=BB38_13 Depth=1
	s_mov_b32 s16, 0
                                        ; implicit-def: $vgpr6
	s_cbranch_execz .LBB38_23
.LBB38_25:                              ;   in Loop: Header=BB38_13 Depth=1
	s_and_not1_b32 s16, s16, exec_lo
	s_and_b32 s17, s1, exec_lo
	s_delay_alu instid0(SALU_CYCLE_1) | instskip(NEXT) | instid1(SALU_CYCLE_1)
	s_or_b32 s16, s16, s17
	s_and_saveexec_b32 s17, s16
.LBB38_26:                              ;   in Loop: Header=BB38_13 Depth=1
	ds_store_b32 v20, v4 offset:8192
.LBB38_27:                              ;   in Loop: Header=BB38_13 Depth=1
	s_or_b32 exec_lo, exec_lo, s17
	s_wait_dscnt 0x0
	s_barrier_signal -1
	s_barrier_wait -1
	s_and_saveexec_b32 s16, s2
	s_cbranch_execz .LBB38_12
; %bb.28:                               ;   in Loop: Header=BB38_13 Depth=1
	global_load_b32 v4, v20, s[12:13]
	ds_load_b32 v6, v20 offset:8192
	s_mov_b32 s17, 0
	s_wait_loadcnt 0x0
	v_xor_b32_e32 v7, 0x80000000, v4
	v_mov_b32_e32 v21, v9
	v_mov_b64_e32 v[4:5], v[2:3]
	s_wait_dscnt 0x0
	s_delay_alu instid0(VALU_DEP_3)
	v_mul_f32_e32 v22, v6, v7
	v_mov_b64_e32 v[6:7], v[0:1]
.LBB38_29:                              ;   Parent Loop BB38_13 Depth=1
                                        ; =>  This Inner Loop Header: Depth=2
	flat_load_b32 v23, v[4:5]
	ds_load_b32 v24, v21
	v_add_nc_u64_e32 v[6:7], 0x200, v[6:7]
	v_add_nc_u32_e32 v21, 0x800, v21
	s_delay_alu instid0(VALU_DEP_2)
	v_cmp_le_i64_e32 vcc_lo, s[6:7], v[6:7]
	s_or_b32 s17, vcc_lo, s17
	s_wait_loadcnt_dscnt 0x0
	v_fmac_f32_e32 v23, v22, v24
	flat_store_b32 v[4:5], v23
	s_wait_xcnt 0x0
	v_add_nc_u64_e32 v[4:5], s[14:15], v[4:5]
	s_and_not1_b32 exec_lo, exec_lo, s17
	s_cbranch_execnz .LBB38_29
	s_branch .LBB38_12
.LBB38_30:
	s_endpgm
	.section	.rodata,"a",@progbits
	.p2align	6, 0x0
	.amdhsa_kernel _ZN9rocsolver6v33100L23larf_right_kernel_smallILi512EflPKPfEEvT1_S5_T2_lS5_lPKT0_lS6_lS5_l
		.amdhsa_group_segment_fixed_size 8256
		.amdhsa_private_segment_fixed_size 0
		.amdhsa_kernarg_size 96
		.amdhsa_user_sgpr_count 2
		.amdhsa_user_sgpr_dispatch_ptr 0
		.amdhsa_user_sgpr_queue_ptr 0
		.amdhsa_user_sgpr_kernarg_segment_ptr 1
		.amdhsa_user_sgpr_dispatch_id 0
		.amdhsa_user_sgpr_kernarg_preload_length 0
		.amdhsa_user_sgpr_kernarg_preload_offset 0
		.amdhsa_user_sgpr_private_segment_size 0
		.amdhsa_wavefront_size32 1
		.amdhsa_uses_dynamic_stack 0
		.amdhsa_enable_private_segment 0
		.amdhsa_system_sgpr_workgroup_id_x 1
		.amdhsa_system_sgpr_workgroup_id_y 1
		.amdhsa_system_sgpr_workgroup_id_z 0
		.amdhsa_system_sgpr_workgroup_info 0
		.amdhsa_system_vgpr_workitem_id 0
		.amdhsa_next_free_vgpr 28
		.amdhsa_next_free_sgpr 34
		.amdhsa_named_barrier_count 0
		.amdhsa_reserve_vcc 1
		.amdhsa_float_round_mode_32 0
		.amdhsa_float_round_mode_16_64 0
		.amdhsa_float_denorm_mode_32 3
		.amdhsa_float_denorm_mode_16_64 3
		.amdhsa_fp16_overflow 0
		.amdhsa_memory_ordered 1
		.amdhsa_forward_progress 1
		.amdhsa_inst_pref_size 14
		.amdhsa_round_robin_scheduling 0
		.amdhsa_exception_fp_ieee_invalid_op 0
		.amdhsa_exception_fp_denorm_src 0
		.amdhsa_exception_fp_ieee_div_zero 0
		.amdhsa_exception_fp_ieee_overflow 0
		.amdhsa_exception_fp_ieee_underflow 0
		.amdhsa_exception_fp_ieee_inexact 0
		.amdhsa_exception_int_div_zero 0
	.end_amdhsa_kernel
	.section	.text._ZN9rocsolver6v33100L23larf_right_kernel_smallILi512EflPKPfEEvT1_S5_T2_lS5_lPKT0_lS6_lS5_l,"axG",@progbits,_ZN9rocsolver6v33100L23larf_right_kernel_smallILi512EflPKPfEEvT1_S5_T2_lS5_lPKT0_lS6_lS5_l,comdat
.Lfunc_end38:
	.size	_ZN9rocsolver6v33100L23larf_right_kernel_smallILi512EflPKPfEEvT1_S5_T2_lS5_lPKT0_lS6_lS5_l, .Lfunc_end38-_ZN9rocsolver6v33100L23larf_right_kernel_smallILi512EflPKPfEEvT1_S5_T2_lS5_lPKT0_lS6_lS5_l
                                        ; -- End function
	.set _ZN9rocsolver6v33100L23larf_right_kernel_smallILi512EflPKPfEEvT1_S5_T2_lS5_lPKT0_lS6_lS5_l.num_vgpr, 28
	.set _ZN9rocsolver6v33100L23larf_right_kernel_smallILi512EflPKPfEEvT1_S5_T2_lS5_lPKT0_lS6_lS5_l.num_agpr, 0
	.set _ZN9rocsolver6v33100L23larf_right_kernel_smallILi512EflPKPfEEvT1_S5_T2_lS5_lPKT0_lS6_lS5_l.numbered_sgpr, 34
	.set _ZN9rocsolver6v33100L23larf_right_kernel_smallILi512EflPKPfEEvT1_S5_T2_lS5_lPKT0_lS6_lS5_l.num_named_barrier, 0
	.set _ZN9rocsolver6v33100L23larf_right_kernel_smallILi512EflPKPfEEvT1_S5_T2_lS5_lPKT0_lS6_lS5_l.private_seg_size, 0
	.set _ZN9rocsolver6v33100L23larf_right_kernel_smallILi512EflPKPfEEvT1_S5_T2_lS5_lPKT0_lS6_lS5_l.uses_vcc, 1
	.set _ZN9rocsolver6v33100L23larf_right_kernel_smallILi512EflPKPfEEvT1_S5_T2_lS5_lPKT0_lS6_lS5_l.uses_flat_scratch, 1
	.set _ZN9rocsolver6v33100L23larf_right_kernel_smallILi512EflPKPfEEvT1_S5_T2_lS5_lPKT0_lS6_lS5_l.has_dyn_sized_stack, 0
	.set _ZN9rocsolver6v33100L23larf_right_kernel_smallILi512EflPKPfEEvT1_S5_T2_lS5_lPKT0_lS6_lS5_l.has_recursion, 0
	.set _ZN9rocsolver6v33100L23larf_right_kernel_smallILi512EflPKPfEEvT1_S5_T2_lS5_lPKT0_lS6_lS5_l.has_indirect_call, 0
	.section	.AMDGPU.csdata,"",@progbits
; Kernel info:
; codeLenInByte = 1668
; TotalNumSgprs: 36
; NumVgprs: 28
; ScratchSize: 0
; MemoryBound: 0
; FloatMode: 240
; IeeeMode: 1
; LDSByteSize: 8256 bytes/workgroup (compile time only)
; SGPRBlocks: 0
; VGPRBlocks: 1
; NumSGPRsForWavesPerEU: 36
; NumVGPRsForWavesPerEU: 28
; NamedBarCnt: 0
; Occupancy: 16
; WaveLimiterHint : 1
; COMPUTE_PGM_RSRC2:SCRATCH_EN: 0
; COMPUTE_PGM_RSRC2:USER_SGPR: 2
; COMPUTE_PGM_RSRC2:TRAP_HANDLER: 0
; COMPUTE_PGM_RSRC2:TGID_X_EN: 1
; COMPUTE_PGM_RSRC2:TGID_Y_EN: 1
; COMPUTE_PGM_RSRC2:TGID_Z_EN: 0
; COMPUTE_PGM_RSRC2:TIDIG_COMP_CNT: 0
	.section	.text._ZN9rocsolver6v33100L23larf_right_kernel_smallILi1024EflPKPfEEvT1_S5_T2_lS5_lPKT0_lS6_lS5_l,"axG",@progbits,_ZN9rocsolver6v33100L23larf_right_kernel_smallILi1024EflPKPfEEvT1_S5_T2_lS5_lPKT0_lS6_lS5_l,comdat
	.globl	_ZN9rocsolver6v33100L23larf_right_kernel_smallILi1024EflPKPfEEvT1_S5_T2_lS5_lPKT0_lS6_lS5_l ; -- Begin function _ZN9rocsolver6v33100L23larf_right_kernel_smallILi1024EflPKPfEEvT1_S5_T2_lS5_lPKT0_lS6_lS5_l
	.p2align	8
	.type	_ZN9rocsolver6v33100L23larf_right_kernel_smallILi1024EflPKPfEEvT1_S5_T2_lS5_lPKT0_lS6_lS5_l,@function
_ZN9rocsolver6v33100L23larf_right_kernel_smallILi1024EflPKPfEEvT1_S5_T2_lS5_lPKT0_lS6_lS5_l: ; @_ZN9rocsolver6v33100L23larf_right_kernel_smallILi1024EflPKPfEEvT1_S5_T2_lS5_lPKT0_lS6_lS5_l
; %bb.0:
	s_clause 0x2
	s_load_b64 s[22:23], s[0:1], 0x20
	s_load_b256 s[4:11], s[0:1], 0x0
	s_load_b256 s[12:19], s[0:1], 0x30
	s_bfe_u32 s2, ttmp6, 0x4000c
	s_and_b32 s20, ttmp6, 15
	s_add_co_i32 s2, s2, 1
	s_getreg_b32 s3, hwreg(HW_REG_IB_STS2, 6, 4)
	s_mul_i32 s2, ttmp9, s2
	s_mov_b32 s21, 0
	s_add_co_i32 s20, s20, s2
	s_cmp_eq_u32 s3, 0
	s_cselect_b32 s20, ttmp9, s20
	s_wait_kmcnt 0x0
	v_cmp_gt_i64_e64 s24, s[22:23], 0
	s_and_b32 vcc_lo, exec_lo, s24
	s_mov_b64 s[24:25], 0
	s_cbranch_vccnz .LBB39_2
; %bb.1:
	s_sub_nc_u64 s[24:25], 1, s[6:7]
	s_delay_alu instid0(SALU_CYCLE_1)
	s_mul_u64 s[24:25], s[22:23], s[24:25]
.LBB39_2:
	s_load_b64 s[16:17], s[16:17], s20 offset:0x0 scale_offset
	v_mov_b32_e32 v1, 0
	s_delay_alu instid0(VALU_DEP_1)
	v_cmp_gt_i64_e64 s2, s[6:7], v[0:1]
	s_and_saveexec_b32 s30, s2
	s_cbranch_execz .LBB39_10
; %bb.3:
	s_load_b64 s[8:9], s[8:9], s20 offset:0x0 scale_offset
	v_mov_b32_e32 v3, -1
	v_not_b32_e32 v2, v0
	s_mov_b32 s26, -1
	s_mov_b32 s31, exec_lo
	s_delay_alu instid0(VALU_DEP_1) | instskip(SKIP_1) | instid1(VALU_DEP_2)
	v_add_nc_u64_e32 v[4:5], s[6:7], v[2:3]
	v_mov_b64_e32 v[2:3], v[0:1]
	v_cmpx_lt_u64_e32 0x3ff, v[4:5]
	s_cbranch_execz .LBB39_7
; %bb.4:
	v_lshrrev_b64 v[2:3], 10, v[4:5]
	s_lshl_b64 s[26:27], s[10:11], 2
	s_lshl_b64 s[28:29], s[24:25], 2
	s_wait_kmcnt 0x0
	s_add_nc_u64 s[26:27], s[8:9], s[26:27]
	s_mov_b32 s33, 0
	s_add_nc_u64 s[26:27], s[26:27], s[28:29]
	s_mov_b32 s28, s22
	v_add_nc_u64_e32 v[6:7], 1, v[2:3]
	v_or_b32_e32 v2, 0x400, v0
	v_mov_b32_e32 v3, v1
	s_mov_b32 s29, s23
	s_delay_alu instid0(VALU_DEP_1) | instskip(NEXT) | instid1(VALU_DEP_4)
	v_mov_b64_e32 v[4:5], v[2:3]
	v_dual_mov_b32 v9, v7 :: v_dual_bitop2_b32 v8, -2, v6 bitop3:0x40
	v_mov_b64_e32 v[2:3], v[0:1]
	s_delay_alu instid0(VALU_DEP_2)
	v_mov_b64_e32 v[10:11], v[8:9]
.LBB39_5:                               ; =>This Inner Loop Header: Depth=1
	s_delay_alu instid0(VALU_DEP_2) | instskip(SKIP_1) | instid1(VALU_DEP_3)
	v_mul_u64_e32 v[12:13], s[22:23], v[2:3]
	v_mul_u64_e32 v[14:15], s[28:29], v[4:5]
	v_add_nc_u64_e32 v[10:11], -2, v[10:11]
	s_delay_alu instid0(VALU_DEP_1) | instskip(SKIP_1) | instid1(VALU_DEP_4)
	v_cmp_eq_u64_e32 vcc_lo, 0, v[10:11]
	s_or_b32 s33, vcc_lo, s33
	v_lshl_add_u64 v[12:13], v[12:13], 2, s[26:27]
	s_delay_alu instid0(VALU_DEP_4)
	v_lshl_add_u64 v[14:15], v[14:15], 2, s[26:27]
	s_clause 0x1
	flat_load_b32 v16, v[12:13]
	flat_load_b32 v17, v[14:15]
	s_wait_xcnt 0x1
	v_dual_lshlrev_b32 v12, 2, v2 :: v_dual_lshlrev_b32 v13, 2, v4
	v_add_nc_u64_e32 v[4:5], 0x800, v[4:5]
	v_add_nc_u64_e32 v[2:3], 0x800, v[2:3]
	s_wait_loadcnt_dscnt 0x101
	ds_store_b32 v12, v16
	s_wait_loadcnt_dscnt 0x1
	ds_store_b32 v13, v17
	s_wait_xcnt 0x0
	s_and_not1_b32 exec_lo, exec_lo, s33
	s_cbranch_execnz .LBB39_5
; %bb.6:
	s_or_b32 exec_lo, exec_lo, s33
	v_lshlrev_b64_e32 v[2:3], 10, v[8:9]
	v_cmp_ne_u64_e32 vcc_lo, v[6:7], v[8:9]
	s_delay_alu instid0(VALU_DEP_2)
	v_or_b32_e32 v2, v2, v0
	s_or_not1_b32 s26, vcc_lo, exec_lo
.LBB39_7:
	s_or_b32 exec_lo, exec_lo, s31
	s_delay_alu instid0(SALU_CYCLE_1)
	s_and_b32 exec_lo, exec_lo, s26
	s_cbranch_execz .LBB39_10
; %bb.8:
	s_delay_alu instid0(VALU_DEP_1)
	v_mul_u64_e32 v[4:5], s[22:23], v[2:3]
	s_lshl_b64 s[10:11], s[10:11], 2
	s_lshl_b64 s[24:25], s[24:25], 2
	s_wait_kmcnt 0x0
	s_add_nc_u64 s[8:9], s[8:9], s[10:11]
	v_lshlrev_b32_e32 v6, 2, v2
	s_add_nc_u64 s[8:9], s[8:9], s[24:25]
	s_mov_b32 s10, 0
	s_delay_alu instid0(VALU_DEP_2)
	v_lshl_add_u64 v[4:5], v[4:5], 2, s[8:9]
	s_lshl_b64 s[8:9], s[22:23], 12
.LBB39_9:                               ; =>This Inner Loop Header: Depth=1
	flat_load_b32 v7, v[4:5]
	v_add_nc_u64_e32 v[2:3], 0x400, v[2:3]
	s_wait_xcnt 0x0
	v_add_nc_u64_e32 v[4:5], s[8:9], v[4:5]
	s_delay_alu instid0(VALU_DEP_2)
	v_cmp_le_i64_e32 vcc_lo, s[6:7], v[2:3]
	s_or_b32 s10, vcc_lo, s10
	s_wait_loadcnt_dscnt 0x0
	ds_store_b32 v6, v7
	v_add_nc_u32_e32 v6, 0x1000, v6
	s_and_not1_b32 exec_lo, exec_lo, s10
	s_cbranch_execnz .LBB39_9
.LBB39_10:
	s_or_b32 exec_lo, exec_lo, s30
	s_wait_kmcnt 0x0
	s_bfe_u32 s8, ttmp6, 0x40010
	s_bfe_u32 s9, ttmp6, 0x40004
	s_add_co_i32 s8, s8, 1
	s_wait_dscnt 0x0
	s_mul_i32 s8, ttmp7, s8
	s_barrier_signal -1
	s_add_co_i32 s8, s9, s8
	s_cmp_eq_u32 s3, 0
	s_mov_b32 s9, 0
	s_cselect_b32 s8, ttmp7, s8
	s_barrier_wait -1
	v_cmp_le_i64_e64 s3, s[4:5], s[8:9]
	s_and_b32 vcc_lo, exec_lo, s3
	s_cbranch_vccnz .LBB39_30
; %bb.11:
	s_load_b64 s[22:23], s[0:1], 0x50
	s_mul_u64 s[10:11], s[14:15], s[20:21]
	s_lshl_b64 s[24:25], s[18:19], 2
	s_lshl_b64 s[14:15], s[10:11], 2
	s_cmp_gt_i32 s6, 1
	v_dual_lshrrev_b32 v8, 3, v0 :: v_dual_bitop2_b32 v4, 31, v0 bitop3:0x40
	s_cselect_b32 s18, -1, 0
	s_lshl_b64 s[20:21], s[8:9], 2
	v_mbcnt_lo_u32_b32 v10, -1, 0
	s_add_nc_u64 s[10:11], s[16:17], s[24:25]
	s_add_nc_u64 s[16:17], s[16:17], s[20:21]
	s_wait_xcnt 0x0
	v_cmp_gt_i32_e64 s0, s6, v0
	s_add_nc_u64 s[16:17], s[16:17], s[24:25]
	v_cmp_eq_u32_e64 s1, 0, v0
	v_dual_mov_b32 v12, 0x200c :: v_dual_lshlrev_b32 v9, 2, v0
	v_dual_mov_b32 v11, 0x2004 :: v_dual_mov_b32 v28, 0
	v_mov_b32_e32 v13, 0x2014
	s_wait_kmcnt 0x0
	v_mul_u64_e32 v[2:3], s[22:23], v[0:1]
	v_mul_lo_u32 v26, v0, s22
	v_mov_b32_e32 v14, 0x201c
	v_mov_b32_e32 v15, 0x2024
	;; [unrolled: 1-line block ×12, first 2 shown]
	v_cmp_eq_u32_e64 s3, 0, v4
	v_lshl_or_b32 v27, v10, 2, 64
	s_add_nc_u64 s[12:13], s[12:13], s[14:15]
	s_lshl_b32 s19, s22, 10
	s_lshl_b64 s[14:15], s[22:23], 12
	v_lshl_add_u64 v[2:3], v[2:3], 2, s[16:17]
	s_branch .LBB39_13
.LBB39_12:                              ;   in Loop: Header=BB39_13 Depth=1
	s_or_b32 exec_lo, exec_lo, s16
	s_add_nc_u64 s[8:9], s[8:9], 64
	v_add_nc_u64_e32 v[2:3], 0x100, v[2:3]
	v_cmp_ge_i64_e64 s16, s[8:9], s[4:5]
	s_and_b32 vcc_lo, exec_lo, s16
	s_cbranch_vccnz .LBB39_30
.LBB39_13:                              ; =>This Loop Header: Depth=1
                                        ;     Child Loop BB39_15 Depth 2
                                        ;     Child Loop BB39_29 Depth 2
	v_mov_b32_e32 v4, 0
	s_and_saveexec_b32 s20, s0
	s_cbranch_execz .LBB39_17
; %bb.14:                               ;   in Loop: Header=BB39_13 Depth=1
	v_dual_mov_b32 v4, 0 :: v_dual_mov_b32 v5, v26
	v_dual_mov_b32 v6, v9 :: v_dual_mov_b32 v7, v0
	s_lshl_b64 s[16:17], s[8:9], 2
	s_mov_b32 s21, 0
	s_add_nc_u64 s[16:17], s[10:11], s[16:17]
.LBB39_15:                              ;   Parent Loop BB39_13 Depth=1
                                        ; =>  This Inner Loop Header: Depth=2
	flat_load_b32 v29, v5, s[16:17] scale_offset
	ds_load_b32 v30, v6
	v_add_nc_u32_e32 v7, 0x400, v7
	v_add_nc_u32_e32 v6, 0x1000, v6
	s_wait_xcnt 0x0
	v_add_nc_u32_e32 v5, s19, v5
	s_wait_loadcnt_dscnt 0x0
	v_fmac_f32_e32 v4, v30, v29
	v_cmp_le_i32_e32 vcc_lo, s6, v7
	s_or_b32 s21, vcc_lo, s21
	s_delay_alu instid0(SALU_CYCLE_1)
	s_and_not1_b32 exec_lo, exec_lo, s21
	s_cbranch_execnz .LBB39_15
; %bb.16:                               ;   in Loop: Header=BB39_13 Depth=1
	s_or_b32 exec_lo, exec_lo, s21
.LBB39_17:                              ;   in Loop: Header=BB39_13 Depth=1
	s_delay_alu instid0(SALU_CYCLE_1) | instskip(NEXT) | instid1(SALU_CYCLE_1)
	s_or_b32 exec_lo, exec_lo, s20
	s_and_b32 vcc_lo, exec_lo, s18
	s_cbranch_vccz .LBB39_24
; %bb.18:                               ;   in Loop: Header=BB39_13 Depth=1
	v_cmp_ne_u32_e32 vcc_lo, 31, v10
	v_add_co_ci_u32_e64 v5, null, 0, v10, vcc_lo
	v_cmp_gt_u32_e32 vcc_lo, 30, v10
	s_delay_alu instid0(VALU_DEP_2)
	v_lshlrev_b32_e32 v5, 2, v5
	v_cndmask_b32_e64 v6, 0, 2, vcc_lo
	v_cmp_gt_u32_e32 vcc_lo, 28, v10
	ds_bpermute_b32 v5, v5, v4
	v_add_lshl_u32 v6, v6, v10, 2
	v_cndmask_b32_e64 v7, 0, 4, vcc_lo
	v_cmp_gt_u32_e32 vcc_lo, 24, v10
	s_delay_alu instid0(VALU_DEP_2)
	v_add_lshl_u32 v7, v7, v10, 2
	s_wait_dscnt 0x0
	v_add_f32_e32 v5, v4, v5
	ds_bpermute_b32 v6, v6, v5
	s_wait_dscnt 0x0
	v_add_f32_e32 v5, v5, v6
	ds_bpermute_b32 v6, v7, v5
	v_cndmask_b32_e64 v7, 0, 8, vcc_lo
	s_wait_dscnt 0x0
	v_add_f32_e32 v5, v5, v6
	s_delay_alu instid0(VALU_DEP_2)
	v_add_lshl_u32 v6, v7, v10, 2
	ds_bpermute_b32 v6, v6, v5
	s_wait_dscnt 0x0
	v_add_f32_e32 v5, v5, v6
	ds_bpermute_b32 v6, v27, v5
	s_wait_dscnt 0x0
	v_add_f32_e32 v5, v5, v6
	s_and_saveexec_b32 s16, s3
; %bb.19:                               ;   in Loop: Header=BB39_13 Depth=1
	ds_store_b32 v8, v5 offset:8192
; %bb.20:                               ;   in Loop: Header=BB39_13 Depth=1
	s_or_b32 exec_lo, exec_lo, s16
	s_mov_b32 s17, 0
	s_mov_b32 s16, 0
	s_wait_dscnt 0x0
	s_barrier_signal -1
	s_barrier_wait -1
                                        ; implicit-def: $vgpr6
	s_and_saveexec_b32 s20, s1
	s_delay_alu instid0(SALU_CYCLE_1)
	s_xor_b32 s20, exec_lo, s20
	s_cbranch_execz .LBB39_22
; %bb.21:                               ;   in Loop: Header=BB39_13 Depth=1
	ds_load_2addr_b32 v[6:7], v11 offset1:1
	ds_load_2addr_b32 v[30:31], v12 offset1:1
	;; [unrolled: 1-line block ×4, first 2 shown]
	s_mov_b32 s16, exec_lo
	s_wait_dscnt 0x3
	v_add_f32_e32 v5, v5, v6
	s_delay_alu instid0(VALU_DEP_1) | instskip(SKIP_3) | instid1(VALU_DEP_1)
	v_add_f32_e32 v5, v5, v7
	ds_load_2addr_b32 v[6:7], v15 offset1:1
	s_wait_dscnt 0x3
	v_add_f32_e32 v5, v5, v30
	v_add_f32_e32 v5, v5, v31
	ds_load_2addr_b32 v[30:31], v16 offset1:1
	s_wait_dscnt 0x3
	v_add_f32_e32 v5, v5, v32
	s_delay_alu instid0(VALU_DEP_1) | instskip(SKIP_1) | instid1(VALU_DEP_1)
	v_add_f32_e32 v5, v5, v33
	s_wait_dscnt 0x2
	v_add_f32_e32 v5, v5, v34
	s_delay_alu instid0(VALU_DEP_1) | instskip(SKIP_4) | instid1(VALU_DEP_1)
	v_add_f32_e32 v5, v5, v35
	ds_load_2addr_b32 v[32:33], v17 offset1:1
	ds_load_2addr_b32 v[34:35], v18 offset1:1
	s_wait_dscnt 0x3
	v_add_f32_e32 v5, v5, v6
	v_add_f32_e32 v5, v5, v7
	ds_load_2addr_b32 v[6:7], v19 offset1:1
	s_wait_dscnt 0x3
	v_add_f32_e32 v5, v5, v30
	s_delay_alu instid0(VALU_DEP_1) | instskip(SKIP_3) | instid1(VALU_DEP_1)
	v_add_f32_e32 v5, v5, v31
	ds_load_2addr_b32 v[30:31], v20 offset1:1
	s_wait_dscnt 0x3
	v_add_f32_e32 v5, v5, v32
	v_add_f32_e32 v5, v5, v33
	s_wait_dscnt 0x2
	s_delay_alu instid0(VALU_DEP_1) | instskip(NEXT) | instid1(VALU_DEP_1)
	v_add_f32_e32 v5, v5, v34
	v_add_f32_e32 v5, v5, v35
	ds_load_2addr_b32 v[32:33], v21 offset1:1
	ds_load_2addr_b32 v[34:35], v22 offset1:1
	s_wait_dscnt 0x3
	v_add_f32_e32 v5, v5, v6
	s_delay_alu instid0(VALU_DEP_1) | instskip(SKIP_3) | instid1(VALU_DEP_1)
	v_add_f32_e32 v5, v5, v7
	ds_load_2addr_b32 v[6:7], v23 offset1:1
	s_wait_dscnt 0x3
	v_add_f32_e32 v5, v5, v30
	v_add_f32_e32 v5, v5, v31
	ds_load_2addr_b32 v[30:31], v24 offset1:1
	s_wait_dscnt 0x3
	v_add_f32_e32 v5, v5, v32
	s_delay_alu instid0(VALU_DEP_1) | instskip(SKIP_4) | instid1(VALU_DEP_1)
	v_add_f32_e32 v5, v5, v33
	ds_load_2addr_b32 v[32:33], v25 offset1:1
	ds_load_b32 v29, v28 offset:8316
	s_wait_dscnt 0x4
	v_add_f32_e32 v5, v5, v34
	v_add_f32_e32 v5, v5, v35
	s_wait_dscnt 0x3
	s_delay_alu instid0(VALU_DEP_1) | instskip(NEXT) | instid1(VALU_DEP_1)
	v_add_f32_e32 v5, v5, v6
	v_add_f32_e32 v5, v5, v7
	s_wait_dscnt 0x2
	s_delay_alu instid0(VALU_DEP_1) | instskip(NEXT) | instid1(VALU_DEP_1)
	;; [unrolled: 4-line block ×3, first 2 shown]
	v_add_f32_e32 v5, v5, v32
	v_add_f32_e32 v5, v5, v33
	s_wait_dscnt 0x0
	s_delay_alu instid0(VALU_DEP_1)
	v_add_f32_e32 v6, v5, v29
.LBB39_22:                              ;   in Loop: Header=BB39_13 Depth=1
	s_or_b32 exec_lo, exec_lo, s20
	s_delay_alu instid0(SALU_CYCLE_1)
	s_and_b32 vcc_lo, exec_lo, s17
	s_cbranch_vccnz .LBB39_25
.LBB39_23:                              ;   in Loop: Header=BB39_13 Depth=1
	s_delay_alu instid0(VALU_DEP_1)
	v_mov_b32_e32 v4, v6
	s_and_saveexec_b32 s17, s16
	s_cbranch_execnz .LBB39_26
	s_branch .LBB39_27
.LBB39_24:                              ;   in Loop: Header=BB39_13 Depth=1
	s_mov_b32 s16, 0
                                        ; implicit-def: $vgpr6
	s_cbranch_execz .LBB39_23
.LBB39_25:                              ;   in Loop: Header=BB39_13 Depth=1
	s_and_not1_b32 s16, s16, exec_lo
	s_and_b32 s17, s1, exec_lo
	s_delay_alu instid0(SALU_CYCLE_1) | instskip(NEXT) | instid1(SALU_CYCLE_1)
	s_or_b32 s16, s16, s17
	s_and_saveexec_b32 s17, s16
.LBB39_26:                              ;   in Loop: Header=BB39_13 Depth=1
	ds_store_b32 v28, v4 offset:8192
.LBB39_27:                              ;   in Loop: Header=BB39_13 Depth=1
	s_or_b32 exec_lo, exec_lo, s17
	s_wait_dscnt 0x0
	s_barrier_signal -1
	s_barrier_wait -1
	s_and_saveexec_b32 s16, s2
	s_cbranch_execz .LBB39_12
; %bb.28:                               ;   in Loop: Header=BB39_13 Depth=1
	global_load_b32 v4, v28, s[12:13]
	ds_load_b32 v6, v28 offset:8192
	s_mov_b32 s17, 0
	s_wait_loadcnt 0x0
	v_xor_b32_e32 v7, 0x80000000, v4
	v_mov_b32_e32 v29, v9
	v_mov_b64_e32 v[4:5], v[2:3]
	s_wait_dscnt 0x0
	s_delay_alu instid0(VALU_DEP_3)
	v_mul_f32_e32 v30, v6, v7
	v_mov_b64_e32 v[6:7], v[0:1]
.LBB39_29:                              ;   Parent Loop BB39_13 Depth=1
                                        ; =>  This Inner Loop Header: Depth=2
	flat_load_b32 v31, v[4:5]
	ds_load_b32 v32, v29
	v_add_nc_u64_e32 v[6:7], 0x400, v[6:7]
	v_add_nc_u32_e32 v29, 0x1000, v29
	s_delay_alu instid0(VALU_DEP_2)
	v_cmp_le_i64_e32 vcc_lo, s[6:7], v[6:7]
	s_or_b32 s17, vcc_lo, s17
	s_wait_loadcnt_dscnt 0x0
	v_fmac_f32_e32 v31, v30, v32
	flat_store_b32 v[4:5], v31
	s_wait_xcnt 0x0
	v_add_nc_u64_e32 v[4:5], s[14:15], v[4:5]
	s_and_not1_b32 exec_lo, exec_lo, s17
	s_cbranch_execnz .LBB39_29
	s_branch .LBB39_12
.LBB39_30:
	s_endpgm
	.section	.rodata,"a",@progbits
	.p2align	6, 0x0
	.amdhsa_kernel _ZN9rocsolver6v33100L23larf_right_kernel_smallILi1024EflPKPfEEvT1_S5_T2_lS5_lPKT0_lS6_lS5_l
		.amdhsa_group_segment_fixed_size 8320
		.amdhsa_private_segment_fixed_size 0
		.amdhsa_kernarg_size 96
		.amdhsa_user_sgpr_count 2
		.amdhsa_user_sgpr_dispatch_ptr 0
		.amdhsa_user_sgpr_queue_ptr 0
		.amdhsa_user_sgpr_kernarg_segment_ptr 1
		.amdhsa_user_sgpr_dispatch_id 0
		.amdhsa_user_sgpr_kernarg_preload_length 0
		.amdhsa_user_sgpr_kernarg_preload_offset 0
		.amdhsa_user_sgpr_private_segment_size 0
		.amdhsa_wavefront_size32 1
		.amdhsa_uses_dynamic_stack 0
		.amdhsa_enable_private_segment 0
		.amdhsa_system_sgpr_workgroup_id_x 1
		.amdhsa_system_sgpr_workgroup_id_y 1
		.amdhsa_system_sgpr_workgroup_id_z 0
		.amdhsa_system_sgpr_workgroup_info 0
		.amdhsa_system_vgpr_workitem_id 0
		.amdhsa_next_free_vgpr 36
		.amdhsa_next_free_sgpr 34
		.amdhsa_named_barrier_count 0
		.amdhsa_reserve_vcc 1
		.amdhsa_float_round_mode_32 0
		.amdhsa_float_round_mode_16_64 0
		.amdhsa_float_denorm_mode_32 3
		.amdhsa_float_denorm_mode_16_64 3
		.amdhsa_fp16_overflow 0
		.amdhsa_memory_ordered 1
		.amdhsa_forward_progress 1
		.amdhsa_inst_pref_size 15
		.amdhsa_round_robin_scheduling 0
		.amdhsa_exception_fp_ieee_invalid_op 0
		.amdhsa_exception_fp_denorm_src 0
		.amdhsa_exception_fp_ieee_div_zero 0
		.amdhsa_exception_fp_ieee_overflow 0
		.amdhsa_exception_fp_ieee_underflow 0
		.amdhsa_exception_fp_ieee_inexact 0
		.amdhsa_exception_int_div_zero 0
	.end_amdhsa_kernel
	.section	.text._ZN9rocsolver6v33100L23larf_right_kernel_smallILi1024EflPKPfEEvT1_S5_T2_lS5_lPKT0_lS6_lS5_l,"axG",@progbits,_ZN9rocsolver6v33100L23larf_right_kernel_smallILi1024EflPKPfEEvT1_S5_T2_lS5_lPKT0_lS6_lS5_l,comdat
.Lfunc_end39:
	.size	_ZN9rocsolver6v33100L23larf_right_kernel_smallILi1024EflPKPfEEvT1_S5_T2_lS5_lPKT0_lS6_lS5_l, .Lfunc_end39-_ZN9rocsolver6v33100L23larf_right_kernel_smallILi1024EflPKPfEEvT1_S5_T2_lS5_lPKT0_lS6_lS5_l
                                        ; -- End function
	.set _ZN9rocsolver6v33100L23larf_right_kernel_smallILi1024EflPKPfEEvT1_S5_T2_lS5_lPKT0_lS6_lS5_l.num_vgpr, 36
	.set _ZN9rocsolver6v33100L23larf_right_kernel_smallILi1024EflPKPfEEvT1_S5_T2_lS5_lPKT0_lS6_lS5_l.num_agpr, 0
	.set _ZN9rocsolver6v33100L23larf_right_kernel_smallILi1024EflPKPfEEvT1_S5_T2_lS5_lPKT0_lS6_lS5_l.numbered_sgpr, 34
	.set _ZN9rocsolver6v33100L23larf_right_kernel_smallILi1024EflPKPfEEvT1_S5_T2_lS5_lPKT0_lS6_lS5_l.num_named_barrier, 0
	.set _ZN9rocsolver6v33100L23larf_right_kernel_smallILi1024EflPKPfEEvT1_S5_T2_lS5_lPKT0_lS6_lS5_l.private_seg_size, 0
	.set _ZN9rocsolver6v33100L23larf_right_kernel_smallILi1024EflPKPfEEvT1_S5_T2_lS5_lPKT0_lS6_lS5_l.uses_vcc, 1
	.set _ZN9rocsolver6v33100L23larf_right_kernel_smallILi1024EflPKPfEEvT1_S5_T2_lS5_lPKT0_lS6_lS5_l.uses_flat_scratch, 1
	.set _ZN9rocsolver6v33100L23larf_right_kernel_smallILi1024EflPKPfEEvT1_S5_T2_lS5_lPKT0_lS6_lS5_l.has_dyn_sized_stack, 0
	.set _ZN9rocsolver6v33100L23larf_right_kernel_smallILi1024EflPKPfEEvT1_S5_T2_lS5_lPKT0_lS6_lS5_l.has_recursion, 0
	.set _ZN9rocsolver6v33100L23larf_right_kernel_smallILi1024EflPKPfEEvT1_S5_T2_lS5_lPKT0_lS6_lS5_l.has_indirect_call, 0
	.section	.AMDGPU.csdata,"",@progbits
; Kernel info:
; codeLenInByte = 1916
; TotalNumSgprs: 36
; NumVgprs: 36
; ScratchSize: 0
; MemoryBound: 0
; FloatMode: 240
; IeeeMode: 1
; LDSByteSize: 8320 bytes/workgroup (compile time only)
; SGPRBlocks: 0
; VGPRBlocks: 2
; NumSGPRsForWavesPerEU: 36
; NumVGPRsForWavesPerEU: 36
; NamedBarCnt: 0
; Occupancy: 16
; WaveLimiterHint : 1
; COMPUTE_PGM_RSRC2:SCRATCH_EN: 0
; COMPUTE_PGM_RSRC2:USER_SGPR: 2
; COMPUTE_PGM_RSRC2:TRAP_HANDLER: 0
; COMPUTE_PGM_RSRC2:TGID_X_EN: 1
; COMPUTE_PGM_RSRC2:TGID_Y_EN: 1
; COMPUTE_PGM_RSRC2:TGID_Z_EN: 0
; COMPUTE_PGM_RSRC2:TIDIG_COMP_CNT: 0
	.section	.AMDGPU.gpr_maximums,"",@progbits
	.set amdgpu.max_num_vgpr, 0
	.set amdgpu.max_num_agpr, 0
	.set amdgpu.max_num_sgpr, 0
	.section	.AMDGPU.csdata,"",@progbits
	.type	__hip_cuid_d9a98b0e0d8fd442,@object ; @__hip_cuid_d9a98b0e0d8fd442
	.section	.bss,"aw",@nobits
	.globl	__hip_cuid_d9a98b0e0d8fd442
__hip_cuid_d9a98b0e0d8fd442:
	.byte	0                               ; 0x0
	.size	__hip_cuid_d9a98b0e0d8fd442, 1

	.ident	"AMD clang version 22.0.0git (https://github.com/RadeonOpenCompute/llvm-project roc-7.2.4 26084 f58b06dce1f9c15707c5f808fd002e18c2accf7e)"
	.section	".note.GNU-stack","",@progbits
	.addrsig
	.addrsig_sym __hip_cuid_d9a98b0e0d8fd442
	.amdgpu_metadata
---
amdhsa.kernels:
  - .args:
      - .offset:         0
        .size:           4
        .value_kind:     by_value
      - .offset:         4
        .size:           4
        .value_kind:     by_value
      - .address_space:  global
        .offset:         8
        .size:           8
        .value_kind:     global_buffer
      - .offset:         16
        .size:           8
        .value_kind:     by_value
      - .offset:         24
        .size:           4
        .value_kind:     by_value
      - .offset:         32
        .size:           8
        .value_kind:     by_value
      - .address_space:  global
        .offset:         40
        .size:           8
        .value_kind:     global_buffer
      - .offset:         48
        .size:           8
        .value_kind:     by_value
      - .address_space:  global
        .offset:         56
        .size:           8
        .value_kind:     global_buffer
      - .offset:         64
        .size:           8
        .value_kind:     by_value
      - .offset:         72
        .size:           4
        .value_kind:     by_value
      - .offset:         80
        .size:           8
        .value_kind:     by_value
    .group_segment_fixed_size: 8448
    .kernarg_segment_align: 8
    .kernarg_segment_size: 88
    .language:       OpenCL C
    .language_version:
      - 2
      - 0
    .max_flat_workgroup_size: 64
    .name:           _ZN9rocsolver6v33100L22larf_left_kernel_smallILi64EfiPfEEvT1_S3_T2_lS3_lPKT0_lS4_lS3_l
    .private_segment_fixed_size: 0
    .sgpr_count:     41
    .sgpr_spill_count: 0
    .symbol:         _ZN9rocsolver6v33100L22larf_left_kernel_smallILi64EfiPfEEvT1_S3_T2_lS3_lPKT0_lS4_lS3_l.kd
    .uniform_work_group_size: 1
    .uses_dynamic_stack: false
    .vgpr_count:     35
    .vgpr_spill_count: 0
    .wavefront_size: 32
  - .args:
      - .offset:         0
        .size:           4
        .value_kind:     by_value
      - .offset:         4
        .size:           4
        .value_kind:     by_value
      - .address_space:  global
        .offset:         8
        .size:           8
        .value_kind:     global_buffer
      - .offset:         16
        .size:           8
        .value_kind:     by_value
      - .offset:         24
        .size:           4
        .value_kind:     by_value
      - .offset:         32
        .size:           8
        .value_kind:     by_value
      - .address_space:  global
        .offset:         40
        .size:           8
        .value_kind:     global_buffer
      - .offset:         48
        .size:           8
        .value_kind:     by_value
      - .address_space:  global
        .offset:         56
        .size:           8
        .value_kind:     global_buffer
      - .offset:         64
        .size:           8
        .value_kind:     by_value
      - .offset:         72
        .size:           4
        .value_kind:     by_value
      - .offset:         80
        .size:           8
        .value_kind:     by_value
    .group_segment_fixed_size: 8704
    .kernarg_segment_align: 8
    .kernarg_segment_size: 88
    .language:       OpenCL C
    .language_version:
      - 2
      - 0
    .max_flat_workgroup_size: 128
    .name:           _ZN9rocsolver6v33100L22larf_left_kernel_smallILi128EfiPfEEvT1_S3_T2_lS3_lPKT0_lS4_lS3_l
    .private_segment_fixed_size: 0
    .sgpr_count:     41
    .sgpr_spill_count: 0
    .symbol:         _ZN9rocsolver6v33100L22larf_left_kernel_smallILi128EfiPfEEvT1_S3_T2_lS3_lPKT0_lS4_lS3_l.kd
    .uniform_work_group_size: 1
    .uses_dynamic_stack: false
    .vgpr_count:     33
    .vgpr_spill_count: 0
    .wavefront_size: 32
  - .args:
      - .offset:         0
        .size:           4
        .value_kind:     by_value
      - .offset:         4
        .size:           4
        .value_kind:     by_value
      - .address_space:  global
        .offset:         8
        .size:           8
        .value_kind:     global_buffer
      - .offset:         16
        .size:           8
        .value_kind:     by_value
      - .offset:         24
        .size:           4
        .value_kind:     by_value
      - .offset:         32
        .size:           8
        .value_kind:     by_value
      - .address_space:  global
        .offset:         40
        .size:           8
        .value_kind:     global_buffer
      - .offset:         48
        .size:           8
        .value_kind:     by_value
      - .address_space:  global
        .offset:         56
        .size:           8
        .value_kind:     global_buffer
      - .offset:         64
        .size:           8
        .value_kind:     by_value
      - .offset:         72
        .size:           4
        .value_kind:     by_value
      - .offset:         80
        .size:           8
        .value_kind:     by_value
    .group_segment_fixed_size: 9216
    .kernarg_segment_align: 8
    .kernarg_segment_size: 88
    .language:       OpenCL C
    .language_version:
      - 2
      - 0
    .max_flat_workgroup_size: 256
    .name:           _ZN9rocsolver6v33100L22larf_left_kernel_smallILi256EfiPfEEvT1_S3_T2_lS3_lPKT0_lS4_lS3_l
    .private_segment_fixed_size: 0
    .sgpr_count:     41
    .sgpr_spill_count: 0
    .symbol:         _ZN9rocsolver6v33100L22larf_left_kernel_smallILi256EfiPfEEvT1_S3_T2_lS3_lPKT0_lS4_lS3_l.kd
    .uniform_work_group_size: 1
    .uses_dynamic_stack: false
    .vgpr_count:     36
    .vgpr_spill_count: 0
    .wavefront_size: 32
  - .args:
      - .offset:         0
        .size:           4
        .value_kind:     by_value
      - .offset:         4
        .size:           4
        .value_kind:     by_value
      - .address_space:  global
        .offset:         8
        .size:           8
        .value_kind:     global_buffer
      - .offset:         16
        .size:           8
        .value_kind:     by_value
      - .offset:         24
        .size:           4
        .value_kind:     by_value
      - .offset:         32
        .size:           8
        .value_kind:     by_value
      - .address_space:  global
        .offset:         40
        .size:           8
        .value_kind:     global_buffer
      - .offset:         48
        .size:           8
        .value_kind:     by_value
      - .address_space:  global
        .offset:         56
        .size:           8
        .value_kind:     global_buffer
      - .offset:         64
        .size:           8
        .value_kind:     by_value
      - .offset:         72
        .size:           4
        .value_kind:     by_value
      - .offset:         80
        .size:           8
        .value_kind:     by_value
    .group_segment_fixed_size: 10240
    .kernarg_segment_align: 8
    .kernarg_segment_size: 88
    .language:       OpenCL C
    .language_version:
      - 2
      - 0
    .max_flat_workgroup_size: 512
    .name:           _ZN9rocsolver6v33100L22larf_left_kernel_smallILi512EfiPfEEvT1_S3_T2_lS3_lPKT0_lS4_lS3_l
    .private_segment_fixed_size: 0
    .sgpr_count:     41
    .sgpr_spill_count: 0
    .symbol:         _ZN9rocsolver6v33100L22larf_left_kernel_smallILi512EfiPfEEvT1_S3_T2_lS3_lPKT0_lS4_lS3_l.kd
    .uniform_work_group_size: 1
    .uses_dynamic_stack: false
    .vgpr_count:     39
    .vgpr_spill_count: 0
    .wavefront_size: 32
  - .args:
      - .offset:         0
        .size:           4
        .value_kind:     by_value
      - .offset:         4
        .size:           4
        .value_kind:     by_value
      - .address_space:  global
        .offset:         8
        .size:           8
        .value_kind:     global_buffer
      - .offset:         16
        .size:           8
        .value_kind:     by_value
      - .offset:         24
        .size:           4
        .value_kind:     by_value
      - .offset:         32
        .size:           8
        .value_kind:     by_value
      - .address_space:  global
        .offset:         40
        .size:           8
        .value_kind:     global_buffer
      - .offset:         48
        .size:           8
        .value_kind:     by_value
      - .address_space:  global
        .offset:         56
        .size:           8
        .value_kind:     global_buffer
      - .offset:         64
        .size:           8
        .value_kind:     by_value
      - .offset:         72
        .size:           4
        .value_kind:     by_value
      - .offset:         80
        .size:           8
        .value_kind:     by_value
    .group_segment_fixed_size: 12288
    .kernarg_segment_align: 8
    .kernarg_segment_size: 88
    .language:       OpenCL C
    .language_version:
      - 2
      - 0
    .max_flat_workgroup_size: 1024
    .name:           _ZN9rocsolver6v33100L22larf_left_kernel_smallILi1024EfiPfEEvT1_S3_T2_lS3_lPKT0_lS4_lS3_l
    .private_segment_fixed_size: 0
    .sgpr_count:     41
    .sgpr_spill_count: 0
    .symbol:         _ZN9rocsolver6v33100L22larf_left_kernel_smallILi1024EfiPfEEvT1_S3_T2_lS3_lPKT0_lS4_lS3_l.kd
    .uniform_work_group_size: 1
    .uses_dynamic_stack: false
    .vgpr_count:     47
    .vgpr_spill_count: 0
    .wavefront_size: 32
  - .args:
      - .offset:         0
        .size:           4
        .value_kind:     by_value
      - .offset:         4
        .size:           4
        .value_kind:     by_value
      - .address_space:  global
        .offset:         8
        .size:           8
        .value_kind:     global_buffer
      - .offset:         16
        .size:           8
        .value_kind:     by_value
      - .offset:         24
        .size:           4
        .value_kind:     by_value
      - .offset:         32
        .size:           8
        .value_kind:     by_value
      - .address_space:  global
        .offset:         40
        .size:           8
        .value_kind:     global_buffer
      - .offset:         48
        .size:           8
        .value_kind:     by_value
      - .address_space:  global
        .offset:         56
        .size:           8
        .value_kind:     global_buffer
      - .offset:         64
        .size:           8
        .value_kind:     by_value
      - .offset:         72
        .size:           4
        .value_kind:     by_value
      - .offset:         80
        .size:           8
        .value_kind:     by_value
    .group_segment_fixed_size: 8200
    .kernarg_segment_align: 8
    .kernarg_segment_size: 88
    .language:       OpenCL C
    .language_version:
      - 2
      - 0
    .max_flat_workgroup_size: 64
    .name:           _ZN9rocsolver6v33100L23larf_right_kernel_smallILi64EfiPfEEvT1_S3_T2_lS3_lPKT0_lS4_lS3_l
    .private_segment_fixed_size: 0
    .sgpr_count:     30
    .sgpr_spill_count: 0
    .symbol:         _ZN9rocsolver6v33100L23larf_right_kernel_smallILi64EfiPfEEvT1_S3_T2_lS3_lPKT0_lS4_lS3_l.kd
    .uniform_work_group_size: 1
    .uses_dynamic_stack: false
    .vgpr_count:     23
    .vgpr_spill_count: 0
    .wavefront_size: 32
  - .args:
      - .offset:         0
        .size:           4
        .value_kind:     by_value
      - .offset:         4
        .size:           4
        .value_kind:     by_value
      - .address_space:  global
        .offset:         8
        .size:           8
        .value_kind:     global_buffer
      - .offset:         16
        .size:           8
        .value_kind:     by_value
      - .offset:         24
        .size:           4
        .value_kind:     by_value
      - .offset:         32
        .size:           8
        .value_kind:     by_value
      - .address_space:  global
        .offset:         40
        .size:           8
        .value_kind:     global_buffer
      - .offset:         48
        .size:           8
        .value_kind:     by_value
      - .address_space:  global
        .offset:         56
        .size:           8
        .value_kind:     global_buffer
      - .offset:         64
        .size:           8
        .value_kind:     by_value
      - .offset:         72
        .size:           4
        .value_kind:     by_value
      - .offset:         80
        .size:           8
        .value_kind:     by_value
    .group_segment_fixed_size: 8208
    .kernarg_segment_align: 8
    .kernarg_segment_size: 88
    .language:       OpenCL C
    .language_version:
      - 2
      - 0
    .max_flat_workgroup_size: 128
    .name:           _ZN9rocsolver6v33100L23larf_right_kernel_smallILi128EfiPfEEvT1_S3_T2_lS3_lPKT0_lS4_lS3_l
    .private_segment_fixed_size: 0
    .sgpr_count:     30
    .sgpr_spill_count: 0
    .symbol:         _ZN9rocsolver6v33100L23larf_right_kernel_smallILi128EfiPfEEvT1_S3_T2_lS3_lPKT0_lS4_lS3_l.kd
    .uniform_work_group_size: 1
    .uses_dynamic_stack: false
    .vgpr_count:     23
    .vgpr_spill_count: 0
    .wavefront_size: 32
  - .args:
      - .offset:         0
        .size:           4
        .value_kind:     by_value
      - .offset:         4
        .size:           4
        .value_kind:     by_value
      - .address_space:  global
        .offset:         8
        .size:           8
        .value_kind:     global_buffer
      - .offset:         16
        .size:           8
        .value_kind:     by_value
      - .offset:         24
        .size:           4
        .value_kind:     by_value
      - .offset:         32
        .size:           8
        .value_kind:     by_value
      - .address_space:  global
        .offset:         40
        .size:           8
        .value_kind:     global_buffer
      - .offset:         48
        .size:           8
        .value_kind:     by_value
      - .address_space:  global
        .offset:         56
        .size:           8
        .value_kind:     global_buffer
      - .offset:         64
        .size:           8
        .value_kind:     by_value
      - .offset:         72
        .size:           4
        .value_kind:     by_value
      - .offset:         80
        .size:           8
        .value_kind:     by_value
    .group_segment_fixed_size: 8224
    .kernarg_segment_align: 8
    .kernarg_segment_size: 88
    .language:       OpenCL C
    .language_version:
      - 2
      - 0
    .max_flat_workgroup_size: 256
    .name:           _ZN9rocsolver6v33100L23larf_right_kernel_smallILi256EfiPfEEvT1_S3_T2_lS3_lPKT0_lS4_lS3_l
    .private_segment_fixed_size: 0
    .sgpr_count:     30
    .sgpr_spill_count: 0
    .symbol:         _ZN9rocsolver6v33100L23larf_right_kernel_smallILi256EfiPfEEvT1_S3_T2_lS3_lPKT0_lS4_lS3_l.kd
    .uniform_work_group_size: 1
    .uses_dynamic_stack: false
    .vgpr_count:     23
    .vgpr_spill_count: 0
    .wavefront_size: 32
  - .args:
      - .offset:         0
        .size:           4
        .value_kind:     by_value
      - .offset:         4
        .size:           4
        .value_kind:     by_value
      - .address_space:  global
        .offset:         8
        .size:           8
        .value_kind:     global_buffer
      - .offset:         16
        .size:           8
        .value_kind:     by_value
      - .offset:         24
        .size:           4
        .value_kind:     by_value
      - .offset:         32
        .size:           8
        .value_kind:     by_value
      - .address_space:  global
        .offset:         40
        .size:           8
        .value_kind:     global_buffer
      - .offset:         48
        .size:           8
        .value_kind:     by_value
      - .address_space:  global
        .offset:         56
        .size:           8
        .value_kind:     global_buffer
      - .offset:         64
        .size:           8
        .value_kind:     by_value
      - .offset:         72
        .size:           4
        .value_kind:     by_value
      - .offset:         80
        .size:           8
        .value_kind:     by_value
    .group_segment_fixed_size: 8256
    .kernarg_segment_align: 8
    .kernarg_segment_size: 88
    .language:       OpenCL C
    .language_version:
      - 2
      - 0
    .max_flat_workgroup_size: 512
    .name:           _ZN9rocsolver6v33100L23larf_right_kernel_smallILi512EfiPfEEvT1_S3_T2_lS3_lPKT0_lS4_lS3_l
    .private_segment_fixed_size: 0
    .sgpr_count:     30
    .sgpr_spill_count: 0
    .symbol:         _ZN9rocsolver6v33100L23larf_right_kernel_smallILi512EfiPfEEvT1_S3_T2_lS3_lPKT0_lS4_lS3_l.kd
    .uniform_work_group_size: 1
    .uses_dynamic_stack: false
    .vgpr_count:     24
    .vgpr_spill_count: 0
    .wavefront_size: 32
  - .args:
      - .offset:         0
        .size:           4
        .value_kind:     by_value
      - .offset:         4
        .size:           4
        .value_kind:     by_value
      - .address_space:  global
        .offset:         8
        .size:           8
        .value_kind:     global_buffer
      - .offset:         16
        .size:           8
        .value_kind:     by_value
      - .offset:         24
        .size:           4
        .value_kind:     by_value
      - .offset:         32
        .size:           8
        .value_kind:     by_value
      - .address_space:  global
        .offset:         40
        .size:           8
        .value_kind:     global_buffer
      - .offset:         48
        .size:           8
        .value_kind:     by_value
      - .address_space:  global
        .offset:         56
        .size:           8
        .value_kind:     global_buffer
      - .offset:         64
        .size:           8
        .value_kind:     by_value
      - .offset:         72
        .size:           4
        .value_kind:     by_value
      - .offset:         80
        .size:           8
        .value_kind:     by_value
    .group_segment_fixed_size: 8320
    .kernarg_segment_align: 8
    .kernarg_segment_size: 88
    .language:       OpenCL C
    .language_version:
      - 2
      - 0
    .max_flat_workgroup_size: 1024
    .name:           _ZN9rocsolver6v33100L23larf_right_kernel_smallILi1024EfiPfEEvT1_S3_T2_lS3_lPKT0_lS4_lS3_l
    .private_segment_fixed_size: 0
    .sgpr_count:     30
    .sgpr_spill_count: 0
    .symbol:         _ZN9rocsolver6v33100L23larf_right_kernel_smallILi1024EfiPfEEvT1_S3_T2_lS3_lPKT0_lS4_lS3_l.kd
    .uniform_work_group_size: 1
    .uses_dynamic_stack: false
    .vgpr_count:     32
    .vgpr_spill_count: 0
    .wavefront_size: 32
  - .args:
      - .offset:         0
        .size:           4
        .value_kind:     by_value
      - .offset:         4
        .size:           4
        .value_kind:     by_value
      - .address_space:  global
        .offset:         8
        .size:           8
        .value_kind:     global_buffer
      - .offset:         16
        .size:           8
        .value_kind:     by_value
      - .offset:         24
        .size:           4
        .value_kind:     by_value
      - .offset:         32
        .size:           8
        .value_kind:     by_value
      - .address_space:  global
        .offset:         40
        .size:           8
        .value_kind:     global_buffer
      - .offset:         48
        .size:           8
        .value_kind:     by_value
      - .address_space:  global
        .offset:         56
        .size:           8
        .value_kind:     global_buffer
      - .offset:         64
        .size:           8
        .value_kind:     by_value
      - .offset:         72
        .size:           4
        .value_kind:     by_value
      - .offset:         80
        .size:           8
        .value_kind:     by_value
    .group_segment_fixed_size: 8448
    .kernarg_segment_align: 8
    .kernarg_segment_size: 88
    .language:       OpenCL C
    .language_version:
      - 2
      - 0
    .max_flat_workgroup_size: 64
    .name:           _ZN9rocsolver6v33100L22larf_left_kernel_smallILi64EfiPKPfEEvT1_S5_T2_lS5_lPKT0_lS6_lS5_l
    .private_segment_fixed_size: 0
    .sgpr_count:     39
    .sgpr_spill_count: 0
    .symbol:         _ZN9rocsolver6v33100L22larf_left_kernel_smallILi64EfiPKPfEEvT1_S5_T2_lS5_lPKT0_lS6_lS5_l.kd
    .uniform_work_group_size: 1
    .uses_dynamic_stack: false
    .vgpr_count:     35
    .vgpr_spill_count: 0
    .wavefront_size: 32
  - .args:
      - .offset:         0
        .size:           4
        .value_kind:     by_value
      - .offset:         4
        .size:           4
        .value_kind:     by_value
      - .address_space:  global
        .offset:         8
        .size:           8
        .value_kind:     global_buffer
      - .offset:         16
        .size:           8
        .value_kind:     by_value
      - .offset:         24
        .size:           4
        .value_kind:     by_value
      - .offset:         32
        .size:           8
        .value_kind:     by_value
      - .address_space:  global
        .offset:         40
        .size:           8
        .value_kind:     global_buffer
      - .offset:         48
        .size:           8
        .value_kind:     by_value
      - .address_space:  global
        .offset:         56
        .size:           8
        .value_kind:     global_buffer
      - .offset:         64
        .size:           8
        .value_kind:     by_value
      - .offset:         72
        .size:           4
        .value_kind:     by_value
      - .offset:         80
        .size:           8
        .value_kind:     by_value
    .group_segment_fixed_size: 8704
    .kernarg_segment_align: 8
    .kernarg_segment_size: 88
    .language:       OpenCL C
    .language_version:
      - 2
      - 0
    .max_flat_workgroup_size: 128
    .name:           _ZN9rocsolver6v33100L22larf_left_kernel_smallILi128EfiPKPfEEvT1_S5_T2_lS5_lPKT0_lS6_lS5_l
    .private_segment_fixed_size: 0
    .sgpr_count:     39
    .sgpr_spill_count: 0
    .symbol:         _ZN9rocsolver6v33100L22larf_left_kernel_smallILi128EfiPKPfEEvT1_S5_T2_lS5_lPKT0_lS6_lS5_l.kd
    .uniform_work_group_size: 1
    .uses_dynamic_stack: false
    .vgpr_count:     33
    .vgpr_spill_count: 0
    .wavefront_size: 32
  - .args:
      - .offset:         0
        .size:           4
        .value_kind:     by_value
      - .offset:         4
        .size:           4
        .value_kind:     by_value
      - .address_space:  global
        .offset:         8
        .size:           8
        .value_kind:     global_buffer
      - .offset:         16
        .size:           8
        .value_kind:     by_value
      - .offset:         24
        .size:           4
        .value_kind:     by_value
      - .offset:         32
        .size:           8
        .value_kind:     by_value
      - .address_space:  global
        .offset:         40
        .size:           8
        .value_kind:     global_buffer
      - .offset:         48
        .size:           8
        .value_kind:     by_value
      - .address_space:  global
        .offset:         56
        .size:           8
        .value_kind:     global_buffer
      - .offset:         64
        .size:           8
        .value_kind:     by_value
      - .offset:         72
        .size:           4
        .value_kind:     by_value
      - .offset:         80
        .size:           8
        .value_kind:     by_value
    .group_segment_fixed_size: 9216
    .kernarg_segment_align: 8
    .kernarg_segment_size: 88
    .language:       OpenCL C
    .language_version:
      - 2
      - 0
    .max_flat_workgroup_size: 256
    .name:           _ZN9rocsolver6v33100L22larf_left_kernel_smallILi256EfiPKPfEEvT1_S5_T2_lS5_lPKT0_lS6_lS5_l
    .private_segment_fixed_size: 0
    .sgpr_count:     39
    .sgpr_spill_count: 0
    .symbol:         _ZN9rocsolver6v33100L22larf_left_kernel_smallILi256EfiPKPfEEvT1_S5_T2_lS5_lPKT0_lS6_lS5_l.kd
    .uniform_work_group_size: 1
    .uses_dynamic_stack: false
    .vgpr_count:     36
    .vgpr_spill_count: 0
    .wavefront_size: 32
  - .args:
      - .offset:         0
        .size:           4
        .value_kind:     by_value
      - .offset:         4
        .size:           4
        .value_kind:     by_value
      - .address_space:  global
        .offset:         8
        .size:           8
        .value_kind:     global_buffer
      - .offset:         16
        .size:           8
        .value_kind:     by_value
      - .offset:         24
        .size:           4
        .value_kind:     by_value
      - .offset:         32
        .size:           8
        .value_kind:     by_value
      - .address_space:  global
        .offset:         40
        .size:           8
        .value_kind:     global_buffer
      - .offset:         48
        .size:           8
        .value_kind:     by_value
      - .address_space:  global
        .offset:         56
        .size:           8
        .value_kind:     global_buffer
      - .offset:         64
        .size:           8
        .value_kind:     by_value
      - .offset:         72
        .size:           4
        .value_kind:     by_value
      - .offset:         80
        .size:           8
        .value_kind:     by_value
    .group_segment_fixed_size: 10240
    .kernarg_segment_align: 8
    .kernarg_segment_size: 88
    .language:       OpenCL C
    .language_version:
      - 2
      - 0
    .max_flat_workgroup_size: 512
    .name:           _ZN9rocsolver6v33100L22larf_left_kernel_smallILi512EfiPKPfEEvT1_S5_T2_lS5_lPKT0_lS6_lS5_l
    .private_segment_fixed_size: 0
    .sgpr_count:     39
    .sgpr_spill_count: 0
    .symbol:         _ZN9rocsolver6v33100L22larf_left_kernel_smallILi512EfiPKPfEEvT1_S5_T2_lS5_lPKT0_lS6_lS5_l.kd
    .uniform_work_group_size: 1
    .uses_dynamic_stack: false
    .vgpr_count:     39
    .vgpr_spill_count: 0
    .wavefront_size: 32
  - .args:
      - .offset:         0
        .size:           4
        .value_kind:     by_value
      - .offset:         4
        .size:           4
        .value_kind:     by_value
      - .address_space:  global
        .offset:         8
        .size:           8
        .value_kind:     global_buffer
      - .offset:         16
        .size:           8
        .value_kind:     by_value
      - .offset:         24
        .size:           4
        .value_kind:     by_value
      - .offset:         32
        .size:           8
        .value_kind:     by_value
      - .address_space:  global
        .offset:         40
        .size:           8
        .value_kind:     global_buffer
      - .offset:         48
        .size:           8
        .value_kind:     by_value
      - .address_space:  global
        .offset:         56
        .size:           8
        .value_kind:     global_buffer
      - .offset:         64
        .size:           8
        .value_kind:     by_value
      - .offset:         72
        .size:           4
        .value_kind:     by_value
      - .offset:         80
        .size:           8
        .value_kind:     by_value
    .group_segment_fixed_size: 12288
    .kernarg_segment_align: 8
    .kernarg_segment_size: 88
    .language:       OpenCL C
    .language_version:
      - 2
      - 0
    .max_flat_workgroup_size: 1024
    .name:           _ZN9rocsolver6v33100L22larf_left_kernel_smallILi1024EfiPKPfEEvT1_S5_T2_lS5_lPKT0_lS6_lS5_l
    .private_segment_fixed_size: 0
    .sgpr_count:     39
    .sgpr_spill_count: 0
    .symbol:         _ZN9rocsolver6v33100L22larf_left_kernel_smallILi1024EfiPKPfEEvT1_S5_T2_lS5_lPKT0_lS6_lS5_l.kd
    .uniform_work_group_size: 1
    .uses_dynamic_stack: false
    .vgpr_count:     47
    .vgpr_spill_count: 0
    .wavefront_size: 32
  - .args:
      - .offset:         0
        .size:           4
        .value_kind:     by_value
      - .offset:         4
        .size:           4
        .value_kind:     by_value
      - .address_space:  global
        .offset:         8
        .size:           8
        .value_kind:     global_buffer
      - .offset:         16
        .size:           8
        .value_kind:     by_value
      - .offset:         24
        .size:           4
        .value_kind:     by_value
      - .offset:         32
        .size:           8
        .value_kind:     by_value
      - .address_space:  global
        .offset:         40
        .size:           8
        .value_kind:     global_buffer
      - .offset:         48
        .size:           8
        .value_kind:     by_value
      - .address_space:  global
        .offset:         56
        .size:           8
        .value_kind:     global_buffer
      - .offset:         64
        .size:           8
        .value_kind:     by_value
      - .offset:         72
        .size:           4
        .value_kind:     by_value
      - .offset:         80
        .size:           8
        .value_kind:     by_value
    .group_segment_fixed_size: 8200
    .kernarg_segment_align: 8
    .kernarg_segment_size: 88
    .language:       OpenCL C
    .language_version:
      - 2
      - 0
    .max_flat_workgroup_size: 64
    .name:           _ZN9rocsolver6v33100L23larf_right_kernel_smallILi64EfiPKPfEEvT1_S5_T2_lS5_lPKT0_lS6_lS5_l
    .private_segment_fixed_size: 0
    .sgpr_count:     30
    .sgpr_spill_count: 0
    .symbol:         _ZN9rocsolver6v33100L23larf_right_kernel_smallILi64EfiPKPfEEvT1_S5_T2_lS5_lPKT0_lS6_lS5_l.kd
    .uniform_work_group_size: 1
    .uses_dynamic_stack: false
    .vgpr_count:     13
    .vgpr_spill_count: 0
    .wavefront_size: 32
  - .args:
      - .offset:         0
        .size:           4
        .value_kind:     by_value
      - .offset:         4
        .size:           4
        .value_kind:     by_value
      - .address_space:  global
        .offset:         8
        .size:           8
        .value_kind:     global_buffer
      - .offset:         16
        .size:           8
        .value_kind:     by_value
      - .offset:         24
        .size:           4
        .value_kind:     by_value
      - .offset:         32
        .size:           8
        .value_kind:     by_value
      - .address_space:  global
        .offset:         40
        .size:           8
        .value_kind:     global_buffer
      - .offset:         48
        .size:           8
        .value_kind:     by_value
      - .address_space:  global
        .offset:         56
        .size:           8
        .value_kind:     global_buffer
      - .offset:         64
        .size:           8
        .value_kind:     by_value
      - .offset:         72
        .size:           4
        .value_kind:     by_value
      - .offset:         80
        .size:           8
        .value_kind:     by_value
    .group_segment_fixed_size: 8208
    .kernarg_segment_align: 8
    .kernarg_segment_size: 88
    .language:       OpenCL C
    .language_version:
      - 2
      - 0
    .max_flat_workgroup_size: 128
    .name:           _ZN9rocsolver6v33100L23larf_right_kernel_smallILi128EfiPKPfEEvT1_S5_T2_lS5_lPKT0_lS6_lS5_l
    .private_segment_fixed_size: 0
    .sgpr_count:     30
    .sgpr_spill_count: 0
    .symbol:         _ZN9rocsolver6v33100L23larf_right_kernel_smallILi128EfiPKPfEEvT1_S5_T2_lS5_lPKT0_lS6_lS5_l.kd
    .uniform_work_group_size: 1
    .uses_dynamic_stack: false
    .vgpr_count:     14
    .vgpr_spill_count: 0
    .wavefront_size: 32
  - .args:
      - .offset:         0
        .size:           4
        .value_kind:     by_value
      - .offset:         4
        .size:           4
        .value_kind:     by_value
      - .address_space:  global
        .offset:         8
        .size:           8
        .value_kind:     global_buffer
      - .offset:         16
        .size:           8
        .value_kind:     by_value
      - .offset:         24
        .size:           4
        .value_kind:     by_value
      - .offset:         32
        .size:           8
        .value_kind:     by_value
      - .address_space:  global
        .offset:         40
        .size:           8
        .value_kind:     global_buffer
      - .offset:         48
        .size:           8
        .value_kind:     by_value
      - .address_space:  global
        .offset:         56
        .size:           8
        .value_kind:     global_buffer
      - .offset:         64
        .size:           8
        .value_kind:     by_value
      - .offset:         72
        .size:           4
        .value_kind:     by_value
      - .offset:         80
        .size:           8
        .value_kind:     by_value
    .group_segment_fixed_size: 8224
    .kernarg_segment_align: 8
    .kernarg_segment_size: 88
    .language:       OpenCL C
    .language_version:
      - 2
      - 0
    .max_flat_workgroup_size: 256
    .name:           _ZN9rocsolver6v33100L23larf_right_kernel_smallILi256EfiPKPfEEvT1_S5_T2_lS5_lPKT0_lS6_lS5_l
    .private_segment_fixed_size: 0
    .sgpr_count:     30
    .sgpr_spill_count: 0
    .symbol:         _ZN9rocsolver6v33100L23larf_right_kernel_smallILi256EfiPKPfEEvT1_S5_T2_lS5_lPKT0_lS6_lS5_l.kd
    .uniform_work_group_size: 1
    .uses_dynamic_stack: false
    .vgpr_count:     19
    .vgpr_spill_count: 0
    .wavefront_size: 32
  - .args:
      - .offset:         0
        .size:           4
        .value_kind:     by_value
      - .offset:         4
        .size:           4
        .value_kind:     by_value
      - .address_space:  global
        .offset:         8
        .size:           8
        .value_kind:     global_buffer
      - .offset:         16
        .size:           8
        .value_kind:     by_value
      - .offset:         24
        .size:           4
        .value_kind:     by_value
      - .offset:         32
        .size:           8
        .value_kind:     by_value
      - .address_space:  global
        .offset:         40
        .size:           8
        .value_kind:     global_buffer
      - .offset:         48
        .size:           8
        .value_kind:     by_value
      - .address_space:  global
        .offset:         56
        .size:           8
        .value_kind:     global_buffer
      - .offset:         64
        .size:           8
        .value_kind:     by_value
      - .offset:         72
        .size:           4
        .value_kind:     by_value
      - .offset:         80
        .size:           8
        .value_kind:     by_value
    .group_segment_fixed_size: 8256
    .kernarg_segment_align: 8
    .kernarg_segment_size: 88
    .language:       OpenCL C
    .language_version:
      - 2
      - 0
    .max_flat_workgroup_size: 512
    .name:           _ZN9rocsolver6v33100L23larf_right_kernel_smallILi512EfiPKPfEEvT1_S5_T2_lS5_lPKT0_lS6_lS5_l
    .private_segment_fixed_size: 0
    .sgpr_count:     30
    .sgpr_spill_count: 0
    .symbol:         _ZN9rocsolver6v33100L23larf_right_kernel_smallILi512EfiPKPfEEvT1_S5_T2_lS5_lPKT0_lS6_lS5_l.kd
    .uniform_work_group_size: 1
    .uses_dynamic_stack: false
    .vgpr_count:     24
    .vgpr_spill_count: 0
    .wavefront_size: 32
  - .args:
      - .offset:         0
        .size:           4
        .value_kind:     by_value
      - .offset:         4
        .size:           4
        .value_kind:     by_value
      - .address_space:  global
        .offset:         8
        .size:           8
        .value_kind:     global_buffer
      - .offset:         16
        .size:           8
        .value_kind:     by_value
      - .offset:         24
        .size:           4
        .value_kind:     by_value
      - .offset:         32
        .size:           8
        .value_kind:     by_value
      - .address_space:  global
        .offset:         40
        .size:           8
        .value_kind:     global_buffer
      - .offset:         48
        .size:           8
        .value_kind:     by_value
      - .address_space:  global
        .offset:         56
        .size:           8
        .value_kind:     global_buffer
      - .offset:         64
        .size:           8
        .value_kind:     by_value
      - .offset:         72
        .size:           4
        .value_kind:     by_value
      - .offset:         80
        .size:           8
        .value_kind:     by_value
    .group_segment_fixed_size: 8320
    .kernarg_segment_align: 8
    .kernarg_segment_size: 88
    .language:       OpenCL C
    .language_version:
      - 2
      - 0
    .max_flat_workgroup_size: 1024
    .name:           _ZN9rocsolver6v33100L23larf_right_kernel_smallILi1024EfiPKPfEEvT1_S5_T2_lS5_lPKT0_lS6_lS5_l
    .private_segment_fixed_size: 0
    .sgpr_count:     30
    .sgpr_spill_count: 0
    .symbol:         _ZN9rocsolver6v33100L23larf_right_kernel_smallILi1024EfiPKPfEEvT1_S5_T2_lS5_lPKT0_lS6_lS5_l.kd
    .uniform_work_group_size: 1
    .uses_dynamic_stack: false
    .vgpr_count:     32
    .vgpr_spill_count: 0
    .wavefront_size: 32
  - .args:
      - .offset:         0
        .size:           8
        .value_kind:     by_value
      - .offset:         8
        .size:           8
        .value_kind:     by_value
      - .address_space:  global
        .offset:         16
        .size:           8
        .value_kind:     global_buffer
      - .offset:         24
        .size:           8
        .value_kind:     by_value
      - .offset:         32
        .size:           8
        .value_kind:     by_value
      - .offset:         40
        .size:           8
        .value_kind:     by_value
      - .address_space:  global
        .offset:         48
        .size:           8
        .value_kind:     global_buffer
      - .offset:         56
        .size:           8
        .value_kind:     by_value
      - .address_space:  global
        .offset:         64
        .size:           8
        .value_kind:     global_buffer
      - .offset:         72
        .size:           8
        .value_kind:     by_value
      - .offset:         80
        .size:           8
        .value_kind:     by_value
      - .offset:         88
        .size:           8
        .value_kind:     by_value
    .group_segment_fixed_size: 8448
    .kernarg_segment_align: 8
    .kernarg_segment_size: 96
    .language:       OpenCL C
    .language_version:
      - 2
      - 0
    .max_flat_workgroup_size: 64
    .name:           _ZN9rocsolver6v33100L22larf_left_kernel_smallILi64EflPfEEvT1_S3_T2_lS3_lPKT0_lS4_lS3_l
    .private_segment_fixed_size: 0
    .sgpr_count:     38
    .sgpr_spill_count: 0
    .symbol:         _ZN9rocsolver6v33100L22larf_left_kernel_smallILi64EflPfEEvT1_S3_T2_lS3_lPKT0_lS4_lS3_l.kd
    .uniform_work_group_size: 1
    .uses_dynamic_stack: false
    .vgpr_count:     40
    .vgpr_spill_count: 0
    .wavefront_size: 32
  - .args:
      - .offset:         0
        .size:           8
        .value_kind:     by_value
      - .offset:         8
        .size:           8
        .value_kind:     by_value
      - .address_space:  global
        .offset:         16
        .size:           8
        .value_kind:     global_buffer
      - .offset:         24
        .size:           8
        .value_kind:     by_value
      - .offset:         32
        .size:           8
        .value_kind:     by_value
      - .offset:         40
        .size:           8
        .value_kind:     by_value
      - .address_space:  global
        .offset:         48
        .size:           8
        .value_kind:     global_buffer
      - .offset:         56
        .size:           8
        .value_kind:     by_value
      - .address_space:  global
        .offset:         64
        .size:           8
        .value_kind:     global_buffer
      - .offset:         72
        .size:           8
        .value_kind:     by_value
      - .offset:         80
        .size:           8
        .value_kind:     by_value
      - .offset:         88
        .size:           8
        .value_kind:     by_value
    .group_segment_fixed_size: 8704
    .kernarg_segment_align: 8
    .kernarg_segment_size: 96
    .language:       OpenCL C
    .language_version:
      - 2
      - 0
    .max_flat_workgroup_size: 128
    .name:           _ZN9rocsolver6v33100L22larf_left_kernel_smallILi128EflPfEEvT1_S3_T2_lS3_lPKT0_lS4_lS3_l
    .private_segment_fixed_size: 0
    .sgpr_count:     38
    .sgpr_spill_count: 0
    .symbol:         _ZN9rocsolver6v33100L22larf_left_kernel_smallILi128EflPfEEvT1_S3_T2_lS3_lPKT0_lS4_lS3_l.kd
    .uniform_work_group_size: 1
    .uses_dynamic_stack: false
    .vgpr_count:     42
    .vgpr_spill_count: 0
    .wavefront_size: 32
  - .args:
      - .offset:         0
        .size:           8
        .value_kind:     by_value
      - .offset:         8
        .size:           8
        .value_kind:     by_value
      - .address_space:  global
        .offset:         16
        .size:           8
        .value_kind:     global_buffer
      - .offset:         24
        .size:           8
        .value_kind:     by_value
      - .offset:         32
        .size:           8
        .value_kind:     by_value
      - .offset:         40
        .size:           8
        .value_kind:     by_value
      - .address_space:  global
        .offset:         48
        .size:           8
        .value_kind:     global_buffer
      - .offset:         56
        .size:           8
        .value_kind:     by_value
      - .address_space:  global
        .offset:         64
        .size:           8
        .value_kind:     global_buffer
      - .offset:         72
        .size:           8
        .value_kind:     by_value
      - .offset:         80
        .size:           8
        .value_kind:     by_value
      - .offset:         88
        .size:           8
        .value_kind:     by_value
    .group_segment_fixed_size: 9216
    .kernarg_segment_align: 8
    .kernarg_segment_size: 96
    .language:       OpenCL C
    .language_version:
      - 2
      - 0
    .max_flat_workgroup_size: 256
    .name:           _ZN9rocsolver6v33100L22larf_left_kernel_smallILi256EflPfEEvT1_S3_T2_lS3_lPKT0_lS4_lS3_l
    .private_segment_fixed_size: 0
    .sgpr_count:     38
    .sgpr_spill_count: 0
    .symbol:         _ZN9rocsolver6v33100L22larf_left_kernel_smallILi256EflPfEEvT1_S3_T2_lS3_lPKT0_lS4_lS3_l.kd
    .uniform_work_group_size: 1
    .uses_dynamic_stack: false
    .vgpr_count:     44
    .vgpr_spill_count: 0
    .wavefront_size: 32
  - .args:
      - .offset:         0
        .size:           8
        .value_kind:     by_value
      - .offset:         8
        .size:           8
        .value_kind:     by_value
      - .address_space:  global
        .offset:         16
        .size:           8
        .value_kind:     global_buffer
      - .offset:         24
        .size:           8
        .value_kind:     by_value
      - .offset:         32
        .size:           8
        .value_kind:     by_value
      - .offset:         40
        .size:           8
        .value_kind:     by_value
      - .address_space:  global
        .offset:         48
        .size:           8
        .value_kind:     global_buffer
      - .offset:         56
        .size:           8
        .value_kind:     by_value
      - .address_space:  global
        .offset:         64
        .size:           8
        .value_kind:     global_buffer
      - .offset:         72
        .size:           8
        .value_kind:     by_value
      - .offset:         80
        .size:           8
        .value_kind:     by_value
      - .offset:         88
        .size:           8
        .value_kind:     by_value
    .group_segment_fixed_size: 10240
    .kernarg_segment_align: 8
    .kernarg_segment_size: 96
    .language:       OpenCL C
    .language_version:
      - 2
      - 0
    .max_flat_workgroup_size: 512
    .name:           _ZN9rocsolver6v33100L22larf_left_kernel_smallILi512EflPfEEvT1_S3_T2_lS3_lPKT0_lS4_lS3_l
    .private_segment_fixed_size: 0
    .sgpr_count:     38
    .sgpr_spill_count: 0
    .symbol:         _ZN9rocsolver6v33100L22larf_left_kernel_smallILi512EflPfEEvT1_S3_T2_lS3_lPKT0_lS4_lS3_l.kd
    .uniform_work_group_size: 1
    .uses_dynamic_stack: false
    .vgpr_count:     48
    .vgpr_spill_count: 0
    .wavefront_size: 32
  - .args:
      - .offset:         0
        .size:           8
        .value_kind:     by_value
      - .offset:         8
        .size:           8
        .value_kind:     by_value
      - .address_space:  global
        .offset:         16
        .size:           8
        .value_kind:     global_buffer
      - .offset:         24
        .size:           8
        .value_kind:     by_value
      - .offset:         32
        .size:           8
        .value_kind:     by_value
      - .offset:         40
        .size:           8
        .value_kind:     by_value
      - .address_space:  global
        .offset:         48
        .size:           8
        .value_kind:     global_buffer
      - .offset:         56
        .size:           8
        .value_kind:     by_value
      - .address_space:  global
        .offset:         64
        .size:           8
        .value_kind:     global_buffer
      - .offset:         72
        .size:           8
        .value_kind:     by_value
      - .offset:         80
        .size:           8
        .value_kind:     by_value
      - .offset:         88
        .size:           8
        .value_kind:     by_value
    .group_segment_fixed_size: 12288
    .kernarg_segment_align: 8
    .kernarg_segment_size: 96
    .language:       OpenCL C
    .language_version:
      - 2
      - 0
    .max_flat_workgroup_size: 1024
    .name:           _ZN9rocsolver6v33100L22larf_left_kernel_smallILi1024EflPfEEvT1_S3_T2_lS3_lPKT0_lS4_lS3_l
    .private_segment_fixed_size: 0
    .sgpr_count:     38
    .sgpr_spill_count: 0
    .symbol:         _ZN9rocsolver6v33100L22larf_left_kernel_smallILi1024EflPfEEvT1_S3_T2_lS3_lPKT0_lS4_lS3_l.kd
    .uniform_work_group_size: 1
    .uses_dynamic_stack: false
    .vgpr_count:     54
    .vgpr_spill_count: 0
    .wavefront_size: 32
  - .args:
      - .offset:         0
        .size:           8
        .value_kind:     by_value
      - .offset:         8
        .size:           8
        .value_kind:     by_value
      - .address_space:  global
        .offset:         16
        .size:           8
        .value_kind:     global_buffer
      - .offset:         24
        .size:           8
        .value_kind:     by_value
      - .offset:         32
        .size:           8
        .value_kind:     by_value
      - .offset:         40
        .size:           8
        .value_kind:     by_value
      - .address_space:  global
        .offset:         48
        .size:           8
        .value_kind:     global_buffer
      - .offset:         56
        .size:           8
        .value_kind:     by_value
      - .address_space:  global
        .offset:         64
        .size:           8
        .value_kind:     global_buffer
      - .offset:         72
        .size:           8
        .value_kind:     by_value
      - .offset:         80
        .size:           8
        .value_kind:     by_value
      - .offset:         88
        .size:           8
        .value_kind:     by_value
    .group_segment_fixed_size: 8200
    .kernarg_segment_align: 8
    .kernarg_segment_size: 96
    .language:       OpenCL C
    .language_version:
      - 2
      - 0
    .max_flat_workgroup_size: 64
    .name:           _ZN9rocsolver6v33100L23larf_right_kernel_smallILi64EflPfEEvT1_S3_T2_lS3_lPKT0_lS4_lS3_l
    .private_segment_fixed_size: 0
    .sgpr_count:     38
    .sgpr_spill_count: 0
    .symbol:         _ZN9rocsolver6v33100L23larf_right_kernel_smallILi64EflPfEEvT1_S3_T2_lS3_lPKT0_lS4_lS3_l.kd
    .uniform_work_group_size: 1
    .uses_dynamic_stack: false
    .vgpr_count:     18
    .vgpr_spill_count: 0
    .wavefront_size: 32
  - .args:
      - .offset:         0
        .size:           8
        .value_kind:     by_value
      - .offset:         8
        .size:           8
        .value_kind:     by_value
      - .address_space:  global
        .offset:         16
        .size:           8
        .value_kind:     global_buffer
      - .offset:         24
        .size:           8
        .value_kind:     by_value
      - .offset:         32
        .size:           8
        .value_kind:     by_value
      - .offset:         40
        .size:           8
        .value_kind:     by_value
      - .address_space:  global
        .offset:         48
        .size:           8
        .value_kind:     global_buffer
      - .offset:         56
        .size:           8
        .value_kind:     by_value
      - .address_space:  global
        .offset:         64
        .size:           8
        .value_kind:     global_buffer
      - .offset:         72
        .size:           8
        .value_kind:     by_value
      - .offset:         80
        .size:           8
        .value_kind:     by_value
      - .offset:         88
        .size:           8
        .value_kind:     by_value
    .group_segment_fixed_size: 8208
    .kernarg_segment_align: 8
    .kernarg_segment_size: 96
    .language:       OpenCL C
    .language_version:
      - 2
      - 0
    .max_flat_workgroup_size: 128
    .name:           _ZN9rocsolver6v33100L23larf_right_kernel_smallILi128EflPfEEvT1_S3_T2_lS3_lPKT0_lS4_lS3_l
    .private_segment_fixed_size: 0
    .sgpr_count:     38
    .sgpr_spill_count: 0
    .symbol:         _ZN9rocsolver6v33100L23larf_right_kernel_smallILi128EflPfEEvT1_S3_T2_lS3_lPKT0_lS4_lS3_l.kd
    .uniform_work_group_size: 1
    .uses_dynamic_stack: false
    .vgpr_count:     19
    .vgpr_spill_count: 0
    .wavefront_size: 32
  - .args:
      - .offset:         0
        .size:           8
        .value_kind:     by_value
      - .offset:         8
        .size:           8
        .value_kind:     by_value
      - .address_space:  global
        .offset:         16
        .size:           8
        .value_kind:     global_buffer
      - .offset:         24
        .size:           8
        .value_kind:     by_value
      - .offset:         32
        .size:           8
        .value_kind:     by_value
      - .offset:         40
        .size:           8
        .value_kind:     by_value
      - .address_space:  global
        .offset:         48
        .size:           8
        .value_kind:     global_buffer
      - .offset:         56
        .size:           8
        .value_kind:     by_value
      - .address_space:  global
        .offset:         64
        .size:           8
        .value_kind:     global_buffer
      - .offset:         72
        .size:           8
        .value_kind:     by_value
      - .offset:         80
        .size:           8
        .value_kind:     by_value
      - .offset:         88
        .size:           8
        .value_kind:     by_value
    .group_segment_fixed_size: 8224
    .kernarg_segment_align: 8
    .kernarg_segment_size: 96
    .language:       OpenCL C
    .language_version:
      - 2
      - 0
    .max_flat_workgroup_size: 256
    .name:           _ZN9rocsolver6v33100L23larf_right_kernel_smallILi256EflPfEEvT1_S3_T2_lS3_lPKT0_lS4_lS3_l
    .private_segment_fixed_size: 0
    .sgpr_count:     38
    .sgpr_spill_count: 0
    .symbol:         _ZN9rocsolver6v33100L23larf_right_kernel_smallILi256EflPfEEvT1_S3_T2_lS3_lPKT0_lS4_lS3_l.kd
    .uniform_work_group_size: 1
    .uses_dynamic_stack: false
    .vgpr_count:     22
    .vgpr_spill_count: 0
    .wavefront_size: 32
  - .args:
      - .offset:         0
        .size:           8
        .value_kind:     by_value
      - .offset:         8
        .size:           8
        .value_kind:     by_value
      - .address_space:  global
        .offset:         16
        .size:           8
        .value_kind:     global_buffer
      - .offset:         24
        .size:           8
        .value_kind:     by_value
      - .offset:         32
        .size:           8
        .value_kind:     by_value
      - .offset:         40
        .size:           8
        .value_kind:     by_value
      - .address_space:  global
        .offset:         48
        .size:           8
        .value_kind:     global_buffer
      - .offset:         56
        .size:           8
        .value_kind:     by_value
      - .address_space:  global
        .offset:         64
        .size:           8
        .value_kind:     global_buffer
      - .offset:         72
        .size:           8
        .value_kind:     by_value
      - .offset:         80
        .size:           8
        .value_kind:     by_value
      - .offset:         88
        .size:           8
        .value_kind:     by_value
    .group_segment_fixed_size: 8256
    .kernarg_segment_align: 8
    .kernarg_segment_size: 96
    .language:       OpenCL C
    .language_version:
      - 2
      - 0
    .max_flat_workgroup_size: 512
    .name:           _ZN9rocsolver6v33100L23larf_right_kernel_smallILi512EflPfEEvT1_S3_T2_lS3_lPKT0_lS4_lS3_l
    .private_segment_fixed_size: 0
    .sgpr_count:     38
    .sgpr_spill_count: 0
    .symbol:         _ZN9rocsolver6v33100L23larf_right_kernel_smallILi512EflPfEEvT1_S3_T2_lS3_lPKT0_lS4_lS3_l.kd
    .uniform_work_group_size: 1
    .uses_dynamic_stack: false
    .vgpr_count:     28
    .vgpr_spill_count: 0
    .wavefront_size: 32
  - .args:
      - .offset:         0
        .size:           8
        .value_kind:     by_value
      - .offset:         8
        .size:           8
        .value_kind:     by_value
      - .address_space:  global
        .offset:         16
        .size:           8
        .value_kind:     global_buffer
      - .offset:         24
        .size:           8
        .value_kind:     by_value
      - .offset:         32
        .size:           8
        .value_kind:     by_value
      - .offset:         40
        .size:           8
        .value_kind:     by_value
      - .address_space:  global
        .offset:         48
        .size:           8
        .value_kind:     global_buffer
      - .offset:         56
        .size:           8
        .value_kind:     by_value
      - .address_space:  global
        .offset:         64
        .size:           8
        .value_kind:     global_buffer
      - .offset:         72
        .size:           8
        .value_kind:     by_value
      - .offset:         80
        .size:           8
        .value_kind:     by_value
      - .offset:         88
        .size:           8
        .value_kind:     by_value
    .group_segment_fixed_size: 8320
    .kernarg_segment_align: 8
    .kernarg_segment_size: 96
    .language:       OpenCL C
    .language_version:
      - 2
      - 0
    .max_flat_workgroup_size: 1024
    .name:           _ZN9rocsolver6v33100L23larf_right_kernel_smallILi1024EflPfEEvT1_S3_T2_lS3_lPKT0_lS4_lS3_l
    .private_segment_fixed_size: 0
    .sgpr_count:     38
    .sgpr_spill_count: 0
    .symbol:         _ZN9rocsolver6v33100L23larf_right_kernel_smallILi1024EflPfEEvT1_S3_T2_lS3_lPKT0_lS4_lS3_l.kd
    .uniform_work_group_size: 1
    .uses_dynamic_stack: false
    .vgpr_count:     36
    .vgpr_spill_count: 0
    .wavefront_size: 32
  - .args:
      - .offset:         0
        .size:           8
        .value_kind:     by_value
      - .offset:         8
        .size:           8
        .value_kind:     by_value
      - .address_space:  global
        .offset:         16
        .size:           8
        .value_kind:     global_buffer
      - .offset:         24
        .size:           8
        .value_kind:     by_value
      - .offset:         32
        .size:           8
        .value_kind:     by_value
      - .offset:         40
        .size:           8
        .value_kind:     by_value
      - .address_space:  global
        .offset:         48
        .size:           8
        .value_kind:     global_buffer
      - .offset:         56
        .size:           8
        .value_kind:     by_value
      - .address_space:  global
        .offset:         64
        .size:           8
        .value_kind:     global_buffer
      - .offset:         72
        .size:           8
        .value_kind:     by_value
      - .offset:         80
        .size:           8
        .value_kind:     by_value
      - .offset:         88
        .size:           8
        .value_kind:     by_value
    .group_segment_fixed_size: 8448
    .kernarg_segment_align: 8
    .kernarg_segment_size: 96
    .language:       OpenCL C
    .language_version:
      - 2
      - 0
    .max_flat_workgroup_size: 64
    .name:           _ZN9rocsolver6v33100L22larf_left_kernel_smallILi64EflPKPfEEvT1_S5_T2_lS5_lPKT0_lS6_lS5_l
    .private_segment_fixed_size: 0
    .sgpr_count:     36
    .sgpr_spill_count: 0
    .symbol:         _ZN9rocsolver6v33100L22larf_left_kernel_smallILi64EflPKPfEEvT1_S5_T2_lS5_lPKT0_lS6_lS5_l.kd
    .uniform_work_group_size: 1
    .uses_dynamic_stack: false
    .vgpr_count:     40
    .vgpr_spill_count: 0
    .wavefront_size: 32
  - .args:
      - .offset:         0
        .size:           8
        .value_kind:     by_value
      - .offset:         8
        .size:           8
        .value_kind:     by_value
      - .address_space:  global
        .offset:         16
        .size:           8
        .value_kind:     global_buffer
      - .offset:         24
        .size:           8
        .value_kind:     by_value
      - .offset:         32
        .size:           8
        .value_kind:     by_value
      - .offset:         40
        .size:           8
        .value_kind:     by_value
      - .address_space:  global
        .offset:         48
        .size:           8
        .value_kind:     global_buffer
      - .offset:         56
        .size:           8
        .value_kind:     by_value
      - .address_space:  global
        .offset:         64
        .size:           8
        .value_kind:     global_buffer
      - .offset:         72
        .size:           8
        .value_kind:     by_value
      - .offset:         80
        .size:           8
        .value_kind:     by_value
      - .offset:         88
        .size:           8
        .value_kind:     by_value
    .group_segment_fixed_size: 8704
    .kernarg_segment_align: 8
    .kernarg_segment_size: 96
    .language:       OpenCL C
    .language_version:
      - 2
      - 0
    .max_flat_workgroup_size: 128
    .name:           _ZN9rocsolver6v33100L22larf_left_kernel_smallILi128EflPKPfEEvT1_S5_T2_lS5_lPKT0_lS6_lS5_l
    .private_segment_fixed_size: 0
    .sgpr_count:     36
    .sgpr_spill_count: 0
    .symbol:         _ZN9rocsolver6v33100L22larf_left_kernel_smallILi128EflPKPfEEvT1_S5_T2_lS5_lPKT0_lS6_lS5_l.kd
    .uniform_work_group_size: 1
    .uses_dynamic_stack: false
    .vgpr_count:     42
    .vgpr_spill_count: 0
    .wavefront_size: 32
  - .args:
      - .offset:         0
        .size:           8
        .value_kind:     by_value
      - .offset:         8
        .size:           8
        .value_kind:     by_value
      - .address_space:  global
        .offset:         16
        .size:           8
        .value_kind:     global_buffer
      - .offset:         24
        .size:           8
        .value_kind:     by_value
      - .offset:         32
        .size:           8
        .value_kind:     by_value
      - .offset:         40
        .size:           8
        .value_kind:     by_value
      - .address_space:  global
        .offset:         48
        .size:           8
        .value_kind:     global_buffer
      - .offset:         56
        .size:           8
        .value_kind:     by_value
      - .address_space:  global
        .offset:         64
        .size:           8
        .value_kind:     global_buffer
      - .offset:         72
        .size:           8
        .value_kind:     by_value
      - .offset:         80
        .size:           8
        .value_kind:     by_value
      - .offset:         88
        .size:           8
        .value_kind:     by_value
    .group_segment_fixed_size: 9216
    .kernarg_segment_align: 8
    .kernarg_segment_size: 96
    .language:       OpenCL C
    .language_version:
      - 2
      - 0
    .max_flat_workgroup_size: 256
    .name:           _ZN9rocsolver6v33100L22larf_left_kernel_smallILi256EflPKPfEEvT1_S5_T2_lS5_lPKT0_lS6_lS5_l
    .private_segment_fixed_size: 0
    .sgpr_count:     36
    .sgpr_spill_count: 0
    .symbol:         _ZN9rocsolver6v33100L22larf_left_kernel_smallILi256EflPKPfEEvT1_S5_T2_lS5_lPKT0_lS6_lS5_l.kd
    .uniform_work_group_size: 1
    .uses_dynamic_stack: false
    .vgpr_count:     44
    .vgpr_spill_count: 0
    .wavefront_size: 32
  - .args:
      - .offset:         0
        .size:           8
        .value_kind:     by_value
      - .offset:         8
        .size:           8
        .value_kind:     by_value
      - .address_space:  global
        .offset:         16
        .size:           8
        .value_kind:     global_buffer
      - .offset:         24
        .size:           8
        .value_kind:     by_value
      - .offset:         32
        .size:           8
        .value_kind:     by_value
      - .offset:         40
        .size:           8
        .value_kind:     by_value
      - .address_space:  global
        .offset:         48
        .size:           8
        .value_kind:     global_buffer
      - .offset:         56
        .size:           8
        .value_kind:     by_value
      - .address_space:  global
        .offset:         64
        .size:           8
        .value_kind:     global_buffer
      - .offset:         72
        .size:           8
        .value_kind:     by_value
      - .offset:         80
        .size:           8
        .value_kind:     by_value
      - .offset:         88
        .size:           8
        .value_kind:     by_value
    .group_segment_fixed_size: 10240
    .kernarg_segment_align: 8
    .kernarg_segment_size: 96
    .language:       OpenCL C
    .language_version:
      - 2
      - 0
    .max_flat_workgroup_size: 512
    .name:           _ZN9rocsolver6v33100L22larf_left_kernel_smallILi512EflPKPfEEvT1_S5_T2_lS5_lPKT0_lS6_lS5_l
    .private_segment_fixed_size: 0
    .sgpr_count:     36
    .sgpr_spill_count: 0
    .symbol:         _ZN9rocsolver6v33100L22larf_left_kernel_smallILi512EflPKPfEEvT1_S5_T2_lS5_lPKT0_lS6_lS5_l.kd
    .uniform_work_group_size: 1
    .uses_dynamic_stack: false
    .vgpr_count:     48
    .vgpr_spill_count: 0
    .wavefront_size: 32
  - .args:
      - .offset:         0
        .size:           8
        .value_kind:     by_value
      - .offset:         8
        .size:           8
        .value_kind:     by_value
      - .address_space:  global
        .offset:         16
        .size:           8
        .value_kind:     global_buffer
      - .offset:         24
        .size:           8
        .value_kind:     by_value
      - .offset:         32
        .size:           8
        .value_kind:     by_value
      - .offset:         40
        .size:           8
        .value_kind:     by_value
      - .address_space:  global
        .offset:         48
        .size:           8
        .value_kind:     global_buffer
      - .offset:         56
        .size:           8
        .value_kind:     by_value
      - .address_space:  global
        .offset:         64
        .size:           8
        .value_kind:     global_buffer
      - .offset:         72
        .size:           8
        .value_kind:     by_value
      - .offset:         80
        .size:           8
        .value_kind:     by_value
      - .offset:         88
        .size:           8
        .value_kind:     by_value
    .group_segment_fixed_size: 12288
    .kernarg_segment_align: 8
    .kernarg_segment_size: 96
    .language:       OpenCL C
    .language_version:
      - 2
      - 0
    .max_flat_workgroup_size: 1024
    .name:           _ZN9rocsolver6v33100L22larf_left_kernel_smallILi1024EflPKPfEEvT1_S5_T2_lS5_lPKT0_lS6_lS5_l
    .private_segment_fixed_size: 0
    .sgpr_count:     36
    .sgpr_spill_count: 0
    .symbol:         _ZN9rocsolver6v33100L22larf_left_kernel_smallILi1024EflPKPfEEvT1_S5_T2_lS5_lPKT0_lS6_lS5_l.kd
    .uniform_work_group_size: 1
    .uses_dynamic_stack: false
    .vgpr_count:     54
    .vgpr_spill_count: 0
    .wavefront_size: 32
  - .args:
      - .offset:         0
        .size:           8
        .value_kind:     by_value
      - .offset:         8
        .size:           8
        .value_kind:     by_value
      - .address_space:  global
        .offset:         16
        .size:           8
        .value_kind:     global_buffer
      - .offset:         24
        .size:           8
        .value_kind:     by_value
      - .offset:         32
        .size:           8
        .value_kind:     by_value
      - .offset:         40
        .size:           8
        .value_kind:     by_value
      - .address_space:  global
        .offset:         48
        .size:           8
        .value_kind:     global_buffer
      - .offset:         56
        .size:           8
        .value_kind:     by_value
      - .address_space:  global
        .offset:         64
        .size:           8
        .value_kind:     global_buffer
      - .offset:         72
        .size:           8
        .value_kind:     by_value
      - .offset:         80
        .size:           8
        .value_kind:     by_value
      - .offset:         88
        .size:           8
        .value_kind:     by_value
    .group_segment_fixed_size: 8200
    .kernarg_segment_align: 8
    .kernarg_segment_size: 96
    .language:       OpenCL C
    .language_version:
      - 2
      - 0
    .max_flat_workgroup_size: 64
    .name:           _ZN9rocsolver6v33100L23larf_right_kernel_smallILi64EflPKPfEEvT1_S5_T2_lS5_lPKT0_lS6_lS5_l
    .private_segment_fixed_size: 0
    .sgpr_count:     36
    .sgpr_spill_count: 0
    .symbol:         _ZN9rocsolver6v33100L23larf_right_kernel_smallILi64EflPKPfEEvT1_S5_T2_lS5_lPKT0_lS6_lS5_l.kd
    .uniform_work_group_size: 1
    .uses_dynamic_stack: false
    .vgpr_count:     18
    .vgpr_spill_count: 0
    .wavefront_size: 32
  - .args:
      - .offset:         0
        .size:           8
        .value_kind:     by_value
      - .offset:         8
        .size:           8
        .value_kind:     by_value
      - .address_space:  global
        .offset:         16
        .size:           8
        .value_kind:     global_buffer
      - .offset:         24
        .size:           8
        .value_kind:     by_value
      - .offset:         32
        .size:           8
        .value_kind:     by_value
      - .offset:         40
        .size:           8
        .value_kind:     by_value
      - .address_space:  global
        .offset:         48
        .size:           8
        .value_kind:     global_buffer
      - .offset:         56
        .size:           8
        .value_kind:     by_value
      - .address_space:  global
        .offset:         64
        .size:           8
        .value_kind:     global_buffer
      - .offset:         72
        .size:           8
        .value_kind:     by_value
      - .offset:         80
        .size:           8
        .value_kind:     by_value
      - .offset:         88
        .size:           8
        .value_kind:     by_value
    .group_segment_fixed_size: 8208
    .kernarg_segment_align: 8
    .kernarg_segment_size: 96
    .language:       OpenCL C
    .language_version:
      - 2
      - 0
    .max_flat_workgroup_size: 128
    .name:           _ZN9rocsolver6v33100L23larf_right_kernel_smallILi128EflPKPfEEvT1_S5_T2_lS5_lPKT0_lS6_lS5_l
    .private_segment_fixed_size: 0
    .sgpr_count:     36
    .sgpr_spill_count: 0
    .symbol:         _ZN9rocsolver6v33100L23larf_right_kernel_smallILi128EflPKPfEEvT1_S5_T2_lS5_lPKT0_lS6_lS5_l.kd
    .uniform_work_group_size: 1
    .uses_dynamic_stack: false
    .vgpr_count:     19
    .vgpr_spill_count: 0
    .wavefront_size: 32
  - .args:
      - .offset:         0
        .size:           8
        .value_kind:     by_value
      - .offset:         8
        .size:           8
        .value_kind:     by_value
      - .address_space:  global
        .offset:         16
        .size:           8
        .value_kind:     global_buffer
      - .offset:         24
        .size:           8
        .value_kind:     by_value
      - .offset:         32
        .size:           8
        .value_kind:     by_value
      - .offset:         40
        .size:           8
        .value_kind:     by_value
      - .address_space:  global
        .offset:         48
        .size:           8
        .value_kind:     global_buffer
      - .offset:         56
        .size:           8
        .value_kind:     by_value
      - .address_space:  global
        .offset:         64
        .size:           8
        .value_kind:     global_buffer
      - .offset:         72
        .size:           8
        .value_kind:     by_value
      - .offset:         80
        .size:           8
        .value_kind:     by_value
      - .offset:         88
        .size:           8
        .value_kind:     by_value
    .group_segment_fixed_size: 8224
    .kernarg_segment_align: 8
    .kernarg_segment_size: 96
    .language:       OpenCL C
    .language_version:
      - 2
      - 0
    .max_flat_workgroup_size: 256
    .name:           _ZN9rocsolver6v33100L23larf_right_kernel_smallILi256EflPKPfEEvT1_S5_T2_lS5_lPKT0_lS6_lS5_l
    .private_segment_fixed_size: 0
    .sgpr_count:     36
    .sgpr_spill_count: 0
    .symbol:         _ZN9rocsolver6v33100L23larf_right_kernel_smallILi256EflPKPfEEvT1_S5_T2_lS5_lPKT0_lS6_lS5_l.kd
    .uniform_work_group_size: 1
    .uses_dynamic_stack: false
    .vgpr_count:     22
    .vgpr_spill_count: 0
    .wavefront_size: 32
  - .args:
      - .offset:         0
        .size:           8
        .value_kind:     by_value
      - .offset:         8
        .size:           8
        .value_kind:     by_value
      - .address_space:  global
        .offset:         16
        .size:           8
        .value_kind:     global_buffer
      - .offset:         24
        .size:           8
        .value_kind:     by_value
      - .offset:         32
        .size:           8
        .value_kind:     by_value
      - .offset:         40
        .size:           8
        .value_kind:     by_value
      - .address_space:  global
        .offset:         48
        .size:           8
        .value_kind:     global_buffer
      - .offset:         56
        .size:           8
        .value_kind:     by_value
      - .address_space:  global
        .offset:         64
        .size:           8
        .value_kind:     global_buffer
      - .offset:         72
        .size:           8
        .value_kind:     by_value
      - .offset:         80
        .size:           8
        .value_kind:     by_value
      - .offset:         88
        .size:           8
        .value_kind:     by_value
    .group_segment_fixed_size: 8256
    .kernarg_segment_align: 8
    .kernarg_segment_size: 96
    .language:       OpenCL C
    .language_version:
      - 2
      - 0
    .max_flat_workgroup_size: 512
    .name:           _ZN9rocsolver6v33100L23larf_right_kernel_smallILi512EflPKPfEEvT1_S5_T2_lS5_lPKT0_lS6_lS5_l
    .private_segment_fixed_size: 0
    .sgpr_count:     36
    .sgpr_spill_count: 0
    .symbol:         _ZN9rocsolver6v33100L23larf_right_kernel_smallILi512EflPKPfEEvT1_S5_T2_lS5_lPKT0_lS6_lS5_l.kd
    .uniform_work_group_size: 1
    .uses_dynamic_stack: false
    .vgpr_count:     28
    .vgpr_spill_count: 0
    .wavefront_size: 32
  - .args:
      - .offset:         0
        .size:           8
        .value_kind:     by_value
      - .offset:         8
        .size:           8
        .value_kind:     by_value
      - .address_space:  global
        .offset:         16
        .size:           8
        .value_kind:     global_buffer
      - .offset:         24
        .size:           8
        .value_kind:     by_value
      - .offset:         32
        .size:           8
        .value_kind:     by_value
      - .offset:         40
        .size:           8
        .value_kind:     by_value
      - .address_space:  global
        .offset:         48
        .size:           8
        .value_kind:     global_buffer
      - .offset:         56
        .size:           8
        .value_kind:     by_value
      - .address_space:  global
        .offset:         64
        .size:           8
        .value_kind:     global_buffer
      - .offset:         72
        .size:           8
        .value_kind:     by_value
      - .offset:         80
        .size:           8
        .value_kind:     by_value
      - .offset:         88
        .size:           8
        .value_kind:     by_value
    .group_segment_fixed_size: 8320
    .kernarg_segment_align: 8
    .kernarg_segment_size: 96
    .language:       OpenCL C
    .language_version:
      - 2
      - 0
    .max_flat_workgroup_size: 1024
    .name:           _ZN9rocsolver6v33100L23larf_right_kernel_smallILi1024EflPKPfEEvT1_S5_T2_lS5_lPKT0_lS6_lS5_l
    .private_segment_fixed_size: 0
    .sgpr_count:     36
    .sgpr_spill_count: 0
    .symbol:         _ZN9rocsolver6v33100L23larf_right_kernel_smallILi1024EflPKPfEEvT1_S5_T2_lS5_lPKT0_lS6_lS5_l.kd
    .uniform_work_group_size: 1
    .uses_dynamic_stack: false
    .vgpr_count:     36
    .vgpr_spill_count: 0
    .wavefront_size: 32
amdhsa.target:   amdgcn-amd-amdhsa--gfx1250
amdhsa.version:
  - 1
  - 2
...

	.end_amdgpu_metadata
